;; amdgpu-corpus repo=ROCm/rocFFT kind=compiled arch=gfx906 opt=O3
	.text
	.amdgcn_target "amdgcn-amd-amdhsa--gfx906"
	.amdhsa_code_object_version 6
	.protected	fft_rtc_fwd_len374_factors_17_2_11_wgs_238_tpt_34_halfLds_dp_op_CI_CI_sbrr_dirReg ; -- Begin function fft_rtc_fwd_len374_factors_17_2_11_wgs_238_tpt_34_halfLds_dp_op_CI_CI_sbrr_dirReg
	.globl	fft_rtc_fwd_len374_factors_17_2_11_wgs_238_tpt_34_halfLds_dp_op_CI_CI_sbrr_dirReg
	.p2align	8
	.type	fft_rtc_fwd_len374_factors_17_2_11_wgs_238_tpt_34_halfLds_dp_op_CI_CI_sbrr_dirReg,@function
fft_rtc_fwd_len374_factors_17_2_11_wgs_238_tpt_34_halfLds_dp_op_CI_CI_sbrr_dirReg: ; @fft_rtc_fwd_len374_factors_17_2_11_wgs_238_tpt_34_halfLds_dp_op_CI_CI_sbrr_dirReg
; %bb.0:
	s_load_dwordx4 s[16:19], s[4:5], 0x18
	s_load_dwordx4 s[12:15], s[4:5], 0x0
	;; [unrolled: 1-line block ×3, first 2 shown]
	v_mul_u32_u24_e32 v1, 0x788, v0
	v_lshrrev_b32_e32 v1, 16, v1
	s_waitcnt lgkmcnt(0)
	s_load_dwordx2 s[2:3], s[16:17], 0x0
	s_load_dwordx2 s[20:21], s[18:19], 0x0
	v_mad_u64_u32 v[72:73], s[0:1], s6, 7, v[1:2]
	v_mov_b32_e32 v3, 0
	v_mov_b32_e32 v1, 0
	;; [unrolled: 1-line block ×3, first 2 shown]
	v_cmp_lt_u64_e64 s[0:1], s[14:15], 2
	v_mov_b32_e32 v2, 0
	v_mov_b32_e32 v93, v2
	;; [unrolled: 1-line block ×3, first 2 shown]
	s_and_b64 vcc, exec, s[0:1]
	v_mov_b32_e32 v92, v1
	v_mov_b32_e32 v94, v72
	s_cbranch_vccnz .LBB0_8
; %bb.1:
	s_load_dwordx2 s[0:1], s[4:5], 0x10
	s_add_u32 s6, s18, 8
	s_addc_u32 s7, s19, 0
	s_add_u32 s22, s16, 8
	v_mov_b32_e32 v1, 0
	s_addc_u32 s23, s17, 0
	v_mov_b32_e32 v2, 0
	s_waitcnt lgkmcnt(0)
	s_add_u32 s24, s0, 8
	v_mov_b32_e32 v93, v2
	v_mov_b32_e32 v5, v72
	s_addc_u32 s25, s1, 0
	s_mov_b64 s[26:27], 1
	v_mov_b32_e32 v92, v1
	v_mov_b32_e32 v6, v73
.LBB0_2:                                ; =>This Inner Loop Header: Depth=1
	s_load_dwordx2 s[28:29], s[24:25], 0x0
                                        ; implicit-def: $vgpr94_vgpr95
	s_waitcnt lgkmcnt(0)
	v_or_b32_e32 v4, s29, v6
	v_cmp_ne_u64_e32 vcc, 0, v[3:4]
	s_and_saveexec_b64 s[0:1], vcc
	s_xor_b64 s[30:31], exec, s[0:1]
	s_cbranch_execz .LBB0_4
; %bb.3:                                ;   in Loop: Header=BB0_2 Depth=1
	v_cvt_f32_u32_e32 v4, s28
	v_cvt_f32_u32_e32 v7, s29
	s_sub_u32 s0, 0, s28
	s_subb_u32 s1, 0, s29
	v_mac_f32_e32 v4, 0x4f800000, v7
	v_rcp_f32_e32 v4, v4
	v_mul_f32_e32 v4, 0x5f7ffffc, v4
	v_mul_f32_e32 v7, 0x2f800000, v4
	v_trunc_f32_e32 v7, v7
	v_mac_f32_e32 v4, 0xcf800000, v7
	v_cvt_u32_f32_e32 v7, v7
	v_cvt_u32_f32_e32 v4, v4
	v_mul_lo_u32 v8, s0, v7
	v_mul_hi_u32 v9, s0, v4
	v_mul_lo_u32 v11, s1, v4
	v_mul_lo_u32 v10, s0, v4
	v_add_u32_e32 v8, v9, v8
	v_add_u32_e32 v8, v8, v11
	v_mul_hi_u32 v9, v4, v10
	v_mul_lo_u32 v11, v4, v8
	v_mul_hi_u32 v13, v4, v8
	v_mul_hi_u32 v12, v7, v10
	v_mul_lo_u32 v10, v7, v10
	v_mul_hi_u32 v14, v7, v8
	v_add_co_u32_e32 v9, vcc, v9, v11
	v_addc_co_u32_e32 v11, vcc, 0, v13, vcc
	v_mul_lo_u32 v8, v7, v8
	v_add_co_u32_e32 v9, vcc, v9, v10
	v_addc_co_u32_e32 v9, vcc, v11, v12, vcc
	v_addc_co_u32_e32 v10, vcc, 0, v14, vcc
	v_add_co_u32_e32 v8, vcc, v9, v8
	v_addc_co_u32_e32 v9, vcc, 0, v10, vcc
	v_add_co_u32_e32 v4, vcc, v4, v8
	v_addc_co_u32_e32 v7, vcc, v7, v9, vcc
	v_mul_lo_u32 v8, s0, v7
	v_mul_hi_u32 v9, s0, v4
	v_mul_lo_u32 v10, s1, v4
	v_mul_lo_u32 v11, s0, v4
	v_add_u32_e32 v8, v9, v8
	v_add_u32_e32 v8, v8, v10
	v_mul_lo_u32 v12, v4, v8
	v_mul_hi_u32 v13, v4, v11
	v_mul_hi_u32 v14, v4, v8
	;; [unrolled: 1-line block ×3, first 2 shown]
	v_mul_lo_u32 v11, v7, v11
	v_mul_hi_u32 v9, v7, v8
	v_add_co_u32_e32 v12, vcc, v13, v12
	v_addc_co_u32_e32 v13, vcc, 0, v14, vcc
	v_mul_lo_u32 v8, v7, v8
	v_add_co_u32_e32 v11, vcc, v12, v11
	v_addc_co_u32_e32 v10, vcc, v13, v10, vcc
	v_addc_co_u32_e32 v9, vcc, 0, v9, vcc
	v_add_co_u32_e32 v8, vcc, v10, v8
	v_addc_co_u32_e32 v9, vcc, 0, v9, vcc
	v_add_co_u32_e32 v4, vcc, v4, v8
	v_addc_co_u32_e32 v9, vcc, v7, v9, vcc
	v_mad_u64_u32 v[7:8], s[0:1], v5, v9, 0
	v_mul_hi_u32 v10, v5, v4
	v_add_co_u32_e32 v11, vcc, v10, v7
	v_addc_co_u32_e32 v12, vcc, 0, v8, vcc
	v_mad_u64_u32 v[7:8], s[0:1], v6, v4, 0
	v_mad_u64_u32 v[9:10], s[0:1], v6, v9, 0
	v_add_co_u32_e32 v4, vcc, v11, v7
	v_addc_co_u32_e32 v4, vcc, v12, v8, vcc
	v_addc_co_u32_e32 v7, vcc, 0, v10, vcc
	v_add_co_u32_e32 v4, vcc, v4, v9
	v_addc_co_u32_e32 v9, vcc, 0, v7, vcc
	v_mul_lo_u32 v10, s29, v4
	v_mul_lo_u32 v11, s28, v9
	v_mad_u64_u32 v[7:8], s[0:1], s28, v4, 0
	v_add3_u32 v8, v8, v11, v10
	v_sub_u32_e32 v10, v6, v8
	v_mov_b32_e32 v11, s29
	v_sub_co_u32_e32 v7, vcc, v5, v7
	v_subb_co_u32_e64 v10, s[0:1], v10, v11, vcc
	v_subrev_co_u32_e64 v11, s[0:1], s28, v7
	v_subbrev_co_u32_e64 v10, s[0:1], 0, v10, s[0:1]
	v_cmp_le_u32_e64 s[0:1], s29, v10
	v_cndmask_b32_e64 v12, 0, -1, s[0:1]
	v_cmp_le_u32_e64 s[0:1], s28, v11
	v_cndmask_b32_e64 v11, 0, -1, s[0:1]
	v_cmp_eq_u32_e64 s[0:1], s29, v10
	v_cndmask_b32_e64 v10, v12, v11, s[0:1]
	v_add_co_u32_e64 v11, s[0:1], 2, v4
	v_addc_co_u32_e64 v12, s[0:1], 0, v9, s[0:1]
	v_add_co_u32_e64 v13, s[0:1], 1, v4
	v_addc_co_u32_e64 v14, s[0:1], 0, v9, s[0:1]
	v_subb_co_u32_e32 v8, vcc, v6, v8, vcc
	v_cmp_ne_u32_e64 s[0:1], 0, v10
	v_cmp_le_u32_e32 vcc, s29, v8
	v_cndmask_b32_e64 v10, v14, v12, s[0:1]
	v_cndmask_b32_e64 v12, 0, -1, vcc
	v_cmp_le_u32_e32 vcc, s28, v7
	v_cndmask_b32_e64 v7, 0, -1, vcc
	v_cmp_eq_u32_e32 vcc, s29, v8
	v_cndmask_b32_e32 v7, v12, v7, vcc
	v_cmp_ne_u32_e32 vcc, 0, v7
	v_cndmask_b32_e64 v7, v13, v11, s[0:1]
	v_cndmask_b32_e32 v95, v9, v10, vcc
	v_cndmask_b32_e32 v94, v4, v7, vcc
.LBB0_4:                                ;   in Loop: Header=BB0_2 Depth=1
	s_andn2_saveexec_b64 s[0:1], s[30:31]
	s_cbranch_execz .LBB0_6
; %bb.5:                                ;   in Loop: Header=BB0_2 Depth=1
	v_cvt_f32_u32_e32 v4, s28
	s_sub_i32 s30, 0, s28
	v_mov_b32_e32 v95, v3
	v_rcp_iflag_f32_e32 v4, v4
	v_mul_f32_e32 v4, 0x4f7ffffe, v4
	v_cvt_u32_f32_e32 v4, v4
	v_mul_lo_u32 v7, s30, v4
	v_mul_hi_u32 v7, v4, v7
	v_add_u32_e32 v4, v4, v7
	v_mul_hi_u32 v4, v5, v4
	v_mul_lo_u32 v7, v4, s28
	v_add_u32_e32 v8, 1, v4
	v_sub_u32_e32 v7, v5, v7
	v_subrev_u32_e32 v9, s28, v7
	v_cmp_le_u32_e32 vcc, s28, v7
	v_cndmask_b32_e32 v7, v7, v9, vcc
	v_cndmask_b32_e32 v4, v4, v8, vcc
	v_add_u32_e32 v8, 1, v4
	v_cmp_le_u32_e32 vcc, s28, v7
	v_cndmask_b32_e32 v94, v4, v8, vcc
.LBB0_6:                                ;   in Loop: Header=BB0_2 Depth=1
	s_or_b64 exec, exec, s[0:1]
	v_mul_lo_u32 v4, v95, s28
	v_mul_lo_u32 v9, v94, s29
	v_mad_u64_u32 v[7:8], s[0:1], v94, s28, 0
	s_load_dwordx2 s[0:1], s[22:23], 0x0
	s_load_dwordx2 s[28:29], s[6:7], 0x0
	v_add3_u32 v4, v8, v9, v4
	v_sub_co_u32_e32 v5, vcc, v5, v7
	v_subb_co_u32_e32 v4, vcc, v6, v4, vcc
	s_waitcnt lgkmcnt(0)
	v_mul_lo_u32 v6, s0, v4
	v_mul_lo_u32 v7, s1, v5
	v_mad_u64_u32 v[1:2], s[0:1], s0, v5, v[1:2]
	v_mul_lo_u32 v4, s28, v4
	v_mul_lo_u32 v8, s29, v5
	v_mad_u64_u32 v[92:93], s[0:1], s28, v5, v[92:93]
	s_add_u32 s26, s26, 1
	s_addc_u32 s27, s27, 0
	s_add_u32 s6, s6, 8
	v_add3_u32 v93, v8, v93, v4
	s_addc_u32 s7, s7, 0
	v_mov_b32_e32 v4, s14
	s_add_u32 s22, s22, 8
	v_mov_b32_e32 v5, s15
	s_addc_u32 s23, s23, 0
	v_cmp_ge_u64_e32 vcc, s[26:27], v[4:5]
	s_add_u32 s24, s24, 8
	v_add3_u32 v2, v7, v2, v6
	s_addc_u32 s25, s25, 0
	s_cbranch_vccnz .LBB0_8
; %bb.7:                                ;   in Loop: Header=BB0_2 Depth=1
	v_mov_b32_e32 v5, v94
	v_mov_b32_e32 v6, v95
	s_branch .LBB0_2
.LBB0_8:
	s_lshl_b64 s[22:23], s[14:15], 3
	s_load_dwordx2 s[0:1], s[4:5], 0x28
	s_add_u32 s4, s18, s22
	s_mov_b32 s5, 0x7878788
	v_mul_hi_u32 v3, v0, s5
	s_addc_u32 s5, s19, s23
	s_load_dwordx2 s[4:5], s[4:5], 0x0
	s_waitcnt lgkmcnt(0)
	v_cmp_gt_u64_e32 vcc, s[0:1], v[94:95]
	v_mul_u32_u24_e32 v3, 34, v3
	v_sub_u32_e32 v143, v0, v3
	v_mov_b32_e32 v142, 0
                                        ; implicit-def: $vgpr10_vgpr11
                                        ; implicit-def: $vgpr14_vgpr15
                                        ; implicit-def: $vgpr18_vgpr19
                                        ; implicit-def: $vgpr22_vgpr23
                                        ; implicit-def: $vgpr26_vgpr27
                                        ; implicit-def: $vgpr30_vgpr31
                                        ; implicit-def: $vgpr34_vgpr35
                                        ; implicit-def: $vgpr38_vgpr39
                                        ; implicit-def: $vgpr42_vgpr43
                                        ; implicit-def: $vgpr46_vgpr47
                                        ; implicit-def: $vgpr50_vgpr51
                                        ; implicit-def: $vgpr54_vgpr55
                                        ; implicit-def: $vgpr58_vgpr59
                                        ; implicit-def: $vgpr62_vgpr63
                                        ; implicit-def: $vgpr66_vgpr67
                                        ; implicit-def: $vgpr70_vgpr71
                                        ; implicit-def: $vgpr6_vgpr7
	s_and_saveexec_b64 s[6:7], vcc
	s_cbranch_execz .LBB0_12
; %bb.9:
	v_cmp_gt_u32_e64 s[0:1], 22, v143
                                        ; implicit-def: $vgpr4_vgpr5
                                        ; implicit-def: $vgpr68_vgpr69
                                        ; implicit-def: $vgpr64_vgpr65
                                        ; implicit-def: $vgpr60_vgpr61
                                        ; implicit-def: $vgpr56_vgpr57
                                        ; implicit-def: $vgpr52_vgpr53
                                        ; implicit-def: $vgpr48_vgpr49
                                        ; implicit-def: $vgpr44_vgpr45
                                        ; implicit-def: $vgpr40_vgpr41
                                        ; implicit-def: $vgpr36_vgpr37
                                        ; implicit-def: $vgpr32_vgpr33
                                        ; implicit-def: $vgpr28_vgpr29
                                        ; implicit-def: $vgpr24_vgpr25
                                        ; implicit-def: $vgpr20_vgpr21
                                        ; implicit-def: $vgpr16_vgpr17
                                        ; implicit-def: $vgpr12_vgpr13
                                        ; implicit-def: $vgpr8_vgpr9
	s_and_saveexec_b64 s[14:15], s[0:1]
	s_cbranch_execz .LBB0_11
; %bb.10:
	s_add_u32 s0, s16, s22
	s_addc_u32 s1, s17, s23
	s_load_dwordx2 s[0:1], s[0:1], 0x0
	v_mad_u64_u32 v[3:4], s[16:17], s2, v143, 0
	v_add_u32_e32 v12, 0x42, v143
	v_mov_b32_e32 v0, v4
	s_waitcnt lgkmcnt(0)
	v_mul_lo_u32 v9, s1, v94
	v_mul_lo_u32 v10, s0, v95
	v_mad_u64_u32 v[5:6], s[0:1], s0, v94, 0
	v_mad_u64_u32 v[7:8], s[0:1], s3, v143, v[0:1]
	v_add3_u32 v6, v6, v10, v9
	v_lshlrev_b64 v[5:6], 4, v[5:6]
	v_mov_b32_e32 v4, v7
	v_mov_b32_e32 v0, s9
	v_add_co_u32_e64 v7, s[0:1], s8, v5
	v_add_u32_e32 v9, 22, v143
	v_addc_co_u32_e64 v8, s[0:1], v0, v6, s[0:1]
	v_mad_u64_u32 v[5:6], s[0:1], s2, v9, 0
	v_lshlrev_b64 v[0:1], 4, v[1:2]
	v_add_co_u32_e64 v15, s[0:1], v7, v0
	v_mov_b32_e32 v2, v6
	v_addc_co_u32_e64 v16, s[0:1], v8, v1, s[0:1]
	v_lshlrev_b64 v[0:1], 4, v[3:4]
	v_mad_u64_u32 v[2:3], s[0:1], s3, v9, v[2:3]
	v_add_u32_e32 v7, 44, v143
	v_mad_u64_u32 v[3:4], s[0:1], s2, v7, 0
	v_add_co_u32_e64 v0, s[0:1], v15, v0
	v_mov_b32_e32 v6, v2
	v_mov_b32_e32 v2, v4
	v_addc_co_u32_e64 v1, s[0:1], v16, v1, s[0:1]
	v_mad_u64_u32 v[7:8], s[0:1], s3, v7, v[2:3]
	v_mad_u64_u32 v[8:9], s[0:1], s2, v12, 0
	v_lshlrev_b64 v[5:6], 4, v[5:6]
	v_mov_b32_e32 v4, v7
	v_add_co_u32_e64 v10, s[0:1], v15, v5
	v_lshlrev_b64 v[2:3], 4, v[3:4]
	v_mov_b32_e32 v4, v9
	v_addc_co_u32_e64 v11, s[0:1], v16, v6, s[0:1]
	v_mad_u64_u32 v[4:5], s[0:1], s3, v12, v[4:5]
	v_add_u32_e32 v12, 0x58, v143
	v_mad_u64_u32 v[5:6], s[0:1], s2, v12, 0
	v_add_co_u32_e64 v2, s[0:1], v15, v2
	v_mov_b32_e32 v9, v4
	v_mov_b32_e32 v4, v6
	v_addc_co_u32_e64 v3, s[0:1], v16, v3, s[0:1]
	v_lshlrev_b64 v[7:8], 4, v[8:9]
	v_mad_u64_u32 v[12:13], s[0:1], s3, v12, v[4:5]
	v_add_u32_e32 v9, 0x6e, v143
	v_mad_u64_u32 v[13:14], s[0:1], s2, v9, 0
	v_mov_b32_e32 v6, v12
	v_add_co_u32_e64 v73, s[0:1], v15, v7
	v_lshlrev_b64 v[4:5], 4, v[5:6]
	v_mov_b32_e32 v6, v14
	v_addc_co_u32_e64 v74, s[0:1], v16, v8, s[0:1]
	v_mad_u64_u32 v[6:7], s[0:1], s3, v9, v[6:7]
	v_add_u32_e32 v9, 0x84, v143
	v_mad_u64_u32 v[7:8], s[0:1], s2, v9, 0
	v_add_co_u32_e64 v75, s[0:1], v15, v4
	v_mov_b32_e32 v14, v6
	v_mov_b32_e32 v6, v8
	v_addc_co_u32_e64 v76, s[0:1], v16, v5, s[0:1]
	v_mad_u64_u32 v[8:9], s[0:1], s3, v9, v[6:7]
	v_add_u32_e32 v9, 0x9a, v143
	v_lshlrev_b64 v[4:5], 4, v[13:14]
	v_mad_u64_u32 v[12:13], s[0:1], s2, v9, 0
	v_add_co_u32_e64 v77, s[0:1], v15, v4
	v_mov_b32_e32 v6, v13
	v_addc_co_u32_e64 v78, s[0:1], v16, v5, s[0:1]
	v_lshlrev_b64 v[4:5], 4, v[7:8]
	v_mad_u64_u32 v[6:7], s[0:1], s3, v9, v[6:7]
	v_add_u32_e32 v9, 0xb0, v143
	v_mad_u64_u32 v[7:8], s[0:1], s2, v9, 0
	v_add_co_u32_e64 v79, s[0:1], v15, v4
	v_mov_b32_e32 v13, v6
	v_mov_b32_e32 v6, v8
	v_addc_co_u32_e64 v80, s[0:1], v16, v5, s[0:1]
	v_mad_u64_u32 v[8:9], s[0:1], s3, v9, v[6:7]
	v_add_u32_e32 v9, 0xc6, v143
	v_lshlrev_b64 v[4:5], 4, v[12:13]
	v_mad_u64_u32 v[12:13], s[0:1], s2, v9, 0
	v_add_co_u32_e64 v81, s[0:1], v15, v4
	v_mov_b32_e32 v6, v13
	v_addc_co_u32_e64 v82, s[0:1], v16, v5, s[0:1]
	v_lshlrev_b64 v[4:5], 4, v[7:8]
	;; [unrolled: 15-line block ×5, first 2 shown]
	v_mad_u64_u32 v[6:7], s[0:1], s3, v9, v[6:7]
	v_or_b32_e32 v7, 0x160, v143
	v_mad_u64_u32 v[8:9], s[0:1], s2, v7, 0
	v_add_co_u32_e64 v100, s[0:1], v15, v4
	v_mov_b32_e32 v13, v6
	v_mov_b32_e32 v6, v9
	v_addc_co_u32_e64 v101, s[0:1], v16, v5, s[0:1]
	v_mad_u64_u32 v[6:7], s[0:1], s3, v7, v[6:7]
	v_lshlrev_b64 v[4:5], 4, v[12:13]
	v_add_co_u32_e64 v102, s[0:1], v15, v4
	v_mov_b32_e32 v9, v6
	v_addc_co_u32_e64 v103, s[0:1], v16, v5, s[0:1]
	global_load_dwordx4 v[4:7], v[0:1], off
	global_load_dwordx4 v[68:71], v[10:11], off
	v_lshlrev_b64 v[0:1], 4, v[8:9]
	v_add_co_u32_e64 v0, s[0:1], v15, v0
	v_addc_co_u32_e64 v1, s[0:1], v16, v1, s[0:1]
	global_load_dwordx4 v[64:67], v[2:3], off
	global_load_dwordx4 v[60:63], v[73:74], off
	;; [unrolled: 1-line block ×15, first 2 shown]
.LBB0_11:
	s_or_b64 exec, exec, s[14:15]
	v_mov_b32_e32 v142, v143
.LBB0_12:
	s_or_b64 exec, exec, s[6:7]
	s_waitcnt vmcnt(0)
	v_add_f64 v[73:74], v[8:9], v[68:69]
	s_mov_b32 s0, 0x6ed5f1bb
	s_mov_b32 s6, 0x910ea3b9
	;; [unrolled: 1-line block ×4, first 2 shown]
	v_add_f64 v[75:76], v[12:13], v[64:65]
	v_add_f64 v[79:80], v[70:71], -v[10:11]
	s_mov_b32 s8, 0xc61f0d01
	v_mul_f64 v[112:113], v[73:74], s[0:1]
	v_mul_f64 v[118:119], v[73:74], s[6:7]
	s_mov_b32 s14, 0x6c9a05f6
	s_mov_b32 s18, 0x4363dd80
	;; [unrolled: 1-line block ×7, first 2 shown]
	v_add_f64 v[77:78], v[66:67], -v[14:15]
	v_mul_f64 v[110:111], v[75:76], s[8:9]
	v_fma_f64 v[0:1], v[79:80], s[14:15], v[112:113]
	v_mul_f64 v[114:115], v[75:76], s[16:17]
	v_fma_f64 v[83:84], v[79:80], s[18:19], v[118:119]
	v_add_f64 v[81:82], v[16:17], v[60:61]
	s_mov_b32 s24, 0x923c349f
	s_mov_b32 s28, 0x7c9e640b
	;; [unrolled: 1-line block ×6, first 2 shown]
	v_fma_f64 v[2:3], v[77:78], s[24:25], v[110:111]
	v_add_f64 v[0:1], v[4:5], v[0:1]
	v_fma_f64 v[87:88], v[77:78], s[28:29], v[114:115]
	v_add_f64 v[89:90], v[4:5], v[83:84]
	v_add_f64 v[85:86], v[62:63], -v[18:19]
	v_mul_f64 v[116:117], v[81:82], s[22:23]
	v_add_f64 v[83:84], v[20:21], v[56:57]
	s_mov_b32 s26, 0x3259b75e
	s_mov_b32 s34, 0x5d8e7cdc
	;; [unrolled: 1-line block ×4, first 2 shown]
	v_add_f64 v[0:1], v[2:3], v[0:1]
	v_mul_f64 v[122:123], v[81:82], s[26:27]
	v_add_f64 v[2:3], v[87:88], v[89:90]
	v_fma_f64 v[96:97], v[85:86], s[34:35], v[116:117]
	v_add_f64 v[89:90], v[58:59], -v[22:23]
	v_mul_f64 v[120:121], v[83:84], s[6:7]
	v_add_f64 v[87:88], v[24:25], v[52:53]
	s_mov_b32 s30, 0xeb564b22
	s_mov_b32 s31, 0xbfefdd0d
	v_fma_f64 v[98:99], v[85:86], s[30:31], v[122:123]
	v_mul_f64 v[128:129], v[83:84], s[0:1]
	v_add_f64 v[0:1], v[96:97], v[0:1]
	v_add_f64 v[96:97], v[54:55], -v[26:27]
	v_fma_f64 v[100:101], v[89:90], s[18:19], v[120:121]
	v_mul_f64 v[126:127], v[87:88], s[26:27]
	s_mov_b32 s53, 0x3fe9895b
	s_mov_b32 s52, s14
	s_mov_b32 s55, 0x3fefdd0d
	s_mov_b32 s54, s30
	v_add_f64 v[2:3], v[98:99], v[2:3]
	v_fma_f64 v[102:103], v[89:90], s[52:53], v[128:129]
	v_add_f64 v[0:1], v[100:101], v[0:1]
	v_fma_f64 v[100:101], v[96:97], s[54:55], v[126:127]
	v_mul_f64 v[130:131], v[87:88], s[22:23]
	v_add_f64 v[98:99], v[28:29], v[48:49]
	s_mov_b32 s42, 0x75d4884
	s_mov_b32 s36, 0x7faef3
	;; [unrolled: 1-line block ×3, first 2 shown]
	v_add_f64 v[2:3], v[102:103], v[2:3]
	s_mov_b32 s37, 0xbfef7484
	v_add_f64 v[0:1], v[100:101], v[0:1]
	v_fma_f64 v[100:101], v[96:97], s[34:35], v[130:131]
	v_add_f64 v[102:103], v[50:51], -v[30:31]
	v_mul_f64 v[124:125], v[98:99], s[42:43]
	v_mul_f64 v[140:141], v[98:99], s[36:37]
	s_mov_b32 s44, 0x2a9d6da3
	s_mov_b32 s40, 0xacd6c6b4
	;; [unrolled: 1-line block ×4, first 2 shown]
	v_add_f64 v[2:3], v[100:101], v[2:3]
	v_add_f64 v[100:101], v[32:33], v[44:45]
	v_fma_f64 v[108:109], v[102:103], s[44:45], v[124:125]
	v_fma_f64 v[134:135], v[102:103], s[40:41], v[140:141]
	v_add_f64 v[106:107], v[46:47], -v[34:35]
	v_add_f64 v[104:105], v[36:37], v[40:41]
	s_mov_b32 s49, 0x3fe58eea
	s_mov_b32 s48, s44
	;; [unrolled: 1-line block ×3, first 2 shown]
	v_mul_f64 v[132:133], v[100:101], s[36:37]
	v_mul_f64 v[136:137], v[100:101], s[42:43]
	v_add_f64 v[0:1], v[108:109], v[0:1]
	v_add_f64 v[2:3], v[134:135], v[2:3]
	v_add_f64 v[108:109], v[42:43], -v[38:39]
	v_mul_f64 v[134:135], v[104:105], s[16:17]
	v_mul_f64 v[138:139], v[104:105], s[8:9]
	s_mov_b32 s46, s24
	v_fma_f64 v[144:145], v[106:107], s[40:41], v[132:133]
	v_fma_f64 v[146:147], v[106:107], s[48:49], v[136:137]
	s_mov_b32 s2, 0x24924925
	v_mul_hi_u32 v91, v72, s2
	v_cmp_gt_u32_e64 s[2:3], 22, v143
	v_add_f64 v[0:1], v[144:145], v[0:1]
	v_add_f64 v[144:145], v[146:147], v[2:3]
	v_fma_f64 v[2:3], v[108:109], s[28:29], v[134:135]
	v_fma_f64 v[146:147], v[108:109], s[46:47], v[138:139]
	v_add_f64 v[2:3], v[2:3], v[0:1]
	v_add_f64 v[0:1], v[146:147], v[144:145]
	v_sub_u32_e32 v144, v72, v91
	v_lshrrev_b32_e32 v144, 1, v144
	v_add_u32_e32 v91, v144, v91
	v_lshrrev_b32_e32 v91, 2, v91
	v_mul_lo_u32 v91, v91, 7
	v_sub_u32_e32 v72, v72, v91
	v_mul_u32_u24_e32 v72, 0x176, v72
	v_lshlrev_b32_e32 v144, 3, v72
	s_and_saveexec_b64 s[38:39], s[2:3]
	s_cbranch_execz .LBB0_14
; %bb.13:
	v_mul_f64 v[145:146], v[79:80], s[40:41]
	s_mov_b32 s51, 0x3fd71e95
	s_mov_b32 s50, s34
	v_mul_f64 v[155:156], v[77:78], s[50:51]
	v_mul_f64 v[169:170], v[85:86], s[18:19]
	;; [unrolled: 1-line block ×5, first 2 shown]
	v_fma_f64 v[157:158], v[73:74], s[36:37], v[145:146]
	v_fma_f64 v[145:146], v[73:74], s[36:37], -v[145:146]
	v_mul_f64 v[153:154], v[77:78], s[28:29]
	v_fma_f64 v[171:172], v[75:76], s[22:23], v[155:156]
	v_fma_f64 v[183:184], v[81:82], s[6:7], v[169:170]
	v_fma_f64 v[155:156], v[75:76], s[22:23], -v[155:156]
	v_mul_f64 v[189:190], v[96:97], s[14:15]
	v_fma_f64 v[191:192], v[83:84], s[42:43], v[181:182]
	v_add_f64 v[157:158], v[4:5], v[157:158]
	v_add_f64 v[145:146], v[4:5], v[145:146]
	v_fma_f64 v[169:170], v[81:82], s[6:7], -v[169:170]
	v_add_f64 v[118:119], v[118:119], -v[149:150]
	v_mul_f64 v[151:152], v[77:78], s[24:25]
	v_mul_f64 v[161:162], v[85:86], s[30:31]
	v_fma_f64 v[149:150], v[87:88], s[0:1], v[189:190]
	v_add_f64 v[112:113], v[112:113], -v[147:148]
	v_add_f64 v[157:158], v[171:172], v[157:158]
	v_add_f64 v[145:146], v[155:156], v[145:146]
	v_add_f64 v[114:115], v[114:115], -v[153:154]
	v_add_f64 v[118:119], v[4:5], v[118:119]
	v_mul_f64 v[159:160], v[85:86], s[34:35]
	v_mul_f64 v[165:166], v[89:90], s[52:53]
	;; [unrolled: 1-line block ×3, first 2 shown]
	v_add_f64 v[110:111], v[110:111], -v[151:152]
	v_add_f64 v[157:158], v[183:184], v[157:158]
	v_add_f64 v[145:146], v[169:170], v[145:146]
	;; [unrolled: 1-line block ×3, first 2 shown]
	v_add_f64 v[122:123], v[122:123], -v[161:162]
	v_add_f64 v[114:115], v[114:115], v[118:119]
	v_mul_f64 v[163:164], v[89:90], s[18:19]
	v_mul_f64 v[173:174], v[96:97], s[34:35]
	;; [unrolled: 1-line block ×3, first 2 shown]
	v_add_f64 v[147:148], v[191:192], v[157:158]
	v_fma_f64 v[157:158], v[83:84], s[42:43], -v[181:182]
	v_add_f64 v[116:117], v[116:117], -v[159:160]
	v_add_f64 v[110:111], v[110:111], v[112:113]
	v_fma_f64 v[118:119], v[98:99], s[16:17], -v[155:156]
	v_add_f64 v[128:129], v[128:129], -v[165:166]
	v_add_f64 v[114:115], v[122:123], v[114:115]
	v_mul_f64 v[167:168], v[96:97], s[54:55]
	v_add_f64 v[147:148], v[149:150], v[147:148]
	v_fma_f64 v[149:150], v[87:88], s[0:1], -v[189:190]
	v_add_f64 v[145:146], v[157:158], v[145:146]
	v_mul_f64 v[177:178], v[102:103], s[40:41]
	v_add_f64 v[120:121], v[120:121], -v[163:164]
	v_add_f64 v[110:111], v[116:117], v[110:111]
	v_fma_f64 v[116:117], v[100:101], s[8:9], -v[183:184]
	v_add_f64 v[130:131], v[130:131], -v[173:174]
	v_add_f64 v[114:115], v[128:129], v[114:115]
	v_mul_f64 v[175:176], v[102:103], s[44:45]
	v_add_f64 v[145:146], v[149:150], v[145:146]
	v_mul_f64 v[171:172], v[106:107], s[48:49]
	v_mul_f64 v[187:188], v[108:109], s[54:55]
	v_add_f64 v[126:127], v[126:127], -v[167:168]
	v_add_f64 v[110:111], v[120:121], v[110:111]
	v_mul_f64 v[128:129], v[79:80], s[46:47]
	v_add_f64 v[114:115], v[130:131], v[114:115]
	s_mov_b32 s59, 0x3fe0d888
	v_add_f64 v[118:119], v[118:119], v[145:146]
	s_mov_b32 s58, s18
	v_mul_f64 v[179:180], v[106:107], s[40:41]
	v_mul_f64 v[122:123], v[108:109], s[46:47]
	v_fma_f64 v[120:121], v[104:105], s[26:27], -v[187:188]
	v_add_f64 v[124:125], v[124:125], -v[175:176]
	v_add_f64 v[110:111], v[126:127], v[110:111]
	v_add_f64 v[126:127], v[136:137], -v[171:172]
	v_add_f64 v[116:117], v[116:117], v[118:119]
	v_add_f64 v[118:119], v[140:141], -v[177:178]
	v_mul_f64 v[130:131], v[77:78], s[58:59]
	v_fma_f64 v[136:137], v[73:74], s[8:9], v[128:129]
	v_mul_f64 v[185:186], v[108:109], s[28:29]
	v_fma_f64 v[169:170], v[98:99], s[16:17], v[155:156]
	v_add_f64 v[110:111], v[124:125], v[110:111]
	s_mov_b32 s57, 0xbfeca52d
	v_add_f64 v[116:117], v[120:121], v[116:117]
	v_add_f64 v[114:115], v[118:119], v[114:115]
	v_add_f64 v[118:119], v[132:133], -v[179:180]
	v_add_f64 v[120:121], v[138:139], -v[122:123]
	v_mul_f64 v[122:123], v[85:86], s[48:49]
	v_fma_f64 v[124:125], v[75:76], s[6:7], v[130:131]
	v_add_f64 v[132:133], v[4:5], v[136:137]
	s_mov_b32 s56, s28
	v_fma_f64 v[151:152], v[100:101], s[8:9], v[183:184]
	v_add_f64 v[114:115], v[126:127], v[114:115]
	v_add_f64 v[112:113], v[169:170], v[147:148]
	v_add_f64 v[126:127], v[134:135], -v[185:186]
	v_add_f64 v[110:111], v[118:119], v[110:111]
	v_mul_f64 v[118:119], v[89:90], s[56:57]
	v_fma_f64 v[134:135], v[81:82], s[42:43], v[122:123]
	v_add_f64 v[124:125], v[124:125], v[132:133]
	v_fma_f64 v[128:129], v[73:74], s[8:9], -v[128:129]
	v_add_f64 v[114:115], v[120:121], v[114:115]
	v_mul_f64 v[120:121], v[79:80], s[30:31]
	v_fma_f64 v[147:148], v[104:105], s[26:27], v[187:188]
	v_add_f64 v[112:113], v[151:152], v[112:113]
	v_add_f64 v[110:111], v[126:127], v[110:111]
	v_mul_f64 v[126:127], v[96:97], s[40:41]
	v_fma_f64 v[136:137], v[83:84], s[16:17], v[118:119]
	v_add_f64 v[124:125], v[134:135], v[124:125]
	v_mul_f64 v[138:139], v[77:78], s[40:41]
	v_fma_f64 v[140:141], v[73:74], s[26:27], v[120:121]
	v_fma_f64 v[130:131], v[75:76], s[6:7], -v[130:131]
	v_add_f64 v[128:129], v[4:5], v[128:129]
	v_add_f64 v[112:113], v[147:148], v[112:113]
	v_mul_f64 v[145:146], v[102:103], s[54:55]
	v_fma_f64 v[147:148], v[87:88], s[36:37], v[126:127]
	v_add_f64 v[124:125], v[136:137], v[124:125]
	v_mul_f64 v[136:137], v[85:86], s[24:25]
	v_fma_f64 v[149:150], v[75:76], s[36:37], v[138:139]
	v_add_f64 v[140:141], v[4:5], v[140:141]
	v_fma_f64 v[122:123], v[81:82], s[42:43], -v[122:123]
	v_add_f64 v[128:129], v[130:131], v[128:129]
	v_mul_f64 v[151:152], v[106:107], s[34:35]
	v_fma_f64 v[153:154], v[98:99], s[26:27], v[145:146]
	v_add_f64 v[124:125], v[147:148], v[124:125]
	v_mul_f64 v[130:131], v[89:90], s[50:51]
	v_fma_f64 v[147:148], v[81:82], s[8:9], v[136:137]
	v_add_f64 v[140:141], v[149:150], v[140:141]
	v_fma_f64 v[120:121], v[73:74], s[26:27], -v[120:121]
	v_fma_f64 v[118:119], v[83:84], s[16:17], -v[118:119]
	v_add_f64 v[122:123], v[122:123], v[128:129]
	v_mul_f64 v[132:133], v[108:109], s[14:15]
	v_fma_f64 v[149:150], v[100:101], s[22:23], v[151:152]
	v_add_f64 v[124:125], v[153:154], v[124:125]
	v_mul_f64 v[128:129], v[96:97], s[56:57]
	v_fma_f64 v[153:154], v[83:84], s[22:23], v[130:131]
	v_add_f64 v[140:141], v[147:148], v[140:141]
	v_fma_f64 v[138:139], v[75:76], s[36:37], -v[138:139]
	v_add_f64 v[120:121], v[4:5], v[120:121]
	v_fma_f64 v[126:127], v[87:88], s[36:37], -v[126:127]
	v_add_f64 v[118:119], v[118:119], v[122:123]
	v_fma_f64 v[134:135], v[104:105], s[0:1], v[132:133]
	v_add_f64 v[122:123], v[149:150], v[124:125]
	v_mul_f64 v[124:125], v[102:103], s[18:19]
	v_fma_f64 v[147:148], v[87:88], s[16:17], v[128:129]
	v_add_f64 v[140:141], v[153:154], v[140:141]
	v_fma_f64 v[136:137], v[81:82], s[8:9], -v[136:137]
	v_add_f64 v[120:121], v[138:139], v[120:121]
	v_fma_f64 v[138:139], v[98:99], s[26:27], -v[145:146]
	v_add_f64 v[118:119], v[126:127], v[118:119]
	v_add_f64 v[122:123], v[134:135], v[122:123]
	v_mul_f64 v[126:127], v[106:107], s[52:53]
	v_fma_f64 v[134:135], v[98:99], s[6:7], v[124:125]
	v_add_f64 v[140:141], v[147:148], v[140:141]
	v_fma_f64 v[130:131], v[83:84], s[22:23], -v[130:131]
	v_add_f64 v[120:121], v[136:137], v[120:121]
	v_fma_f64 v[136:137], v[100:101], s[22:23], -v[151:152]
	v_add_f64 v[118:119], v[138:139], v[118:119]
	v_mul_f64 v[147:148], v[79:80], s[56:57]
	v_mul_f64 v[138:139], v[108:109], s[48:49]
	v_fma_f64 v[145:146], v[100:101], s[0:1], v[126:127]
	v_add_f64 v[134:135], v[134:135], v[140:141]
	v_fma_f64 v[128:129], v[87:88], s[16:17], -v[128:129]
	v_add_f64 v[120:121], v[130:131], v[120:121]
	v_fma_f64 v[130:131], v[104:105], s[0:1], -v[132:133]
	v_add_f64 v[118:119], v[136:137], v[118:119]
	v_mul_f64 v[136:137], v[77:78], s[14:15]
	v_fma_f64 v[140:141], v[73:74], s[16:17], v[147:148]
	s_mov_b32 s53, 0x3fc7851a
	s_mov_b32 s52, s40
	v_fma_f64 v[132:133], v[104:105], s[42:43], v[138:139]
	v_add_f64 v[134:135], v[145:146], v[134:135]
	v_add_f64 v[120:121], v[128:129], v[120:121]
	v_mul_f64 v[128:129], v[85:86], s[52:53]
	v_fma_f64 v[145:146], v[75:76], s[0:1], v[136:137]
	v_add_f64 v[140:141], v[4:5], v[140:141]
	v_add_f64 v[118:119], v[130:131], v[118:119]
	v_fma_f64 v[130:131], v[73:74], s[16:17], -v[147:148]
	v_fma_f64 v[124:125], v[98:99], s[6:7], -v[124:125]
	v_add_f64 v[132:133], v[132:133], v[134:135]
	v_fma_f64 v[136:137], v[75:76], s[0:1], -v[136:137]
	v_fma_f64 v[134:135], v[81:82], s[36:37], v[128:129]
	v_fma_f64 v[126:127], v[100:101], s[0:1], -v[126:127]
	v_add_f64 v[140:141], v[145:146], v[140:141]
	v_add_f64 v[145:146], v[68:69], v[4:5]
	v_add_f64 v[130:131], v[4:5], v[130:131]
	v_add_f64 v[120:121], v[124:125], v[120:121]
	v_mul_f64 v[124:125], v[89:90], s[24:25]
	v_fma_f64 v[128:129], v[81:82], s[36:37], -v[128:129]
	v_mul_f64 v[149:150], v[79:80], s[44:45]
	v_mul_f64 v[79:80], v[79:80], s[34:35]
	v_add_f64 v[134:135], v[134:135], v[140:141]
	v_add_f64 v[140:141], v[64:65], v[145:146]
	;; [unrolled: 1-line block ×4, first 2 shown]
	v_mul_f64 v[126:127], v[96:97], s[48:49]
	v_fma_f64 v[147:148], v[83:84], s[8:9], v[124:125]
	v_fma_f64 v[124:125], v[83:84], s[8:9], -v[124:125]
	v_mul_f64 v[145:146], v[102:103], s[34:35]
	v_fma_f64 v[153:154], v[73:74], s[42:43], v[149:150]
	v_add_f64 v[140:141], v[60:61], v[140:141]
	v_add_f64 v[128:129], v[128:129], v[130:131]
	v_mul_f64 v[130:131], v[106:107], s[30:31]
	v_fma_f64 v[151:152], v[87:88], s[42:43], v[126:127]
	v_add_f64 v[134:135], v[147:148], v[134:135]
	v_mul_f64 v[147:148], v[77:78], s[30:31]
	v_fma_f64 v[126:127], v[87:88], s[42:43], -v[126:127]
	v_fma_f64 v[155:156], v[98:99], s[22:23], v[145:146]
	v_add_f64 v[140:141], v[56:57], v[140:141]
	v_add_f64 v[124:125], v[124:125], v[128:129]
	v_mul_f64 v[128:129], v[85:86], s[14:15]
	v_add_f64 v[153:154], v[4:5], v[153:154]
	v_add_f64 v[134:135], v[151:152], v[134:135]
	v_fma_f64 v[151:152], v[75:76], s[26:27], v[147:148]
	v_fma_f64 v[145:146], v[98:99], s[22:23], -v[145:146]
	v_fma_f64 v[157:158], v[100:101], s[26:27], v[130:131]
	v_add_f64 v[140:141], v[52:53], v[140:141]
	v_add_f64 v[124:125], v[126:127], v[124:125]
	v_mul_f64 v[126:127], v[89:90], s[40:41]
	v_fma_f64 v[130:131], v[100:101], s[26:27], -v[130:131]
	v_add_f64 v[134:135], v[155:156], v[134:135]
	v_fma_f64 v[155:156], v[81:82], s[0:1], v[128:129]
	v_add_f64 v[151:152], v[151:152], v[153:154]
	v_mul_f64 v[77:78], v[77:78], s[44:45]
	v_add_f64 v[140:141], v[48:49], v[140:141]
	v_add_f64 v[124:125], v[145:146], v[124:125]
	v_mul_f64 v[145:146], v[96:97], s[58:59]
	v_fma_f64 v[165:166], v[73:74], s[22:23], -v[79:80]
	v_add_f64 v[134:135], v[157:158], v[134:135]
	v_fma_f64 v[157:158], v[83:84], s[36:37], v[126:127]
	v_add_f64 v[151:152], v[155:156], v[151:152]
	v_fma_f64 v[149:150], v[73:74], s[42:43], -v[149:150]
	v_mul_f64 v[85:86], v[85:86], s[56:57]
	v_add_f64 v[124:125], v[130:131], v[124:125]
	v_add_f64 v[130:131], v[44:45], v[140:141]
	v_fma_f64 v[140:141], v[87:88], s[6:7], v[145:146]
	v_fma_f64 v[72:73], v[73:74], s[22:23], v[79:80]
	v_fma_f64 v[79:80], v[75:76], s[42:43], -v[77:78]
	v_add_f64 v[151:152], v[157:158], v[151:152]
	v_fma_f64 v[147:148], v[75:76], s[26:27], -v[147:148]
	v_add_f64 v[149:150], v[4:5], v[149:150]
	v_mul_f64 v[89:90], v[89:90], s[30:31]
	v_add_f64 v[130:131], v[40:41], v[130:131]
	v_fma_f64 v[74:75], v[75:76], s[42:43], v[77:78]
	v_fma_f64 v[128:129], v[81:82], s[0:1], -v[128:129]
	v_mul_f64 v[96:97], v[96:97], s[46:47]
	v_add_f64 v[140:141], v[140:141], v[151:152]
	v_add_f64 v[151:152], v[4:5], v[165:166]
	;; [unrolled: 1-line block ×3, first 2 shown]
	v_fma_f64 v[72:73], v[81:82], s[16:17], -v[85:86]
	v_add_f64 v[130:131], v[36:37], v[130:131]
	v_fma_f64 v[126:127], v[83:84], s[36:37], -v[126:127]
	v_mul_f64 v[159:160], v[102:103], s[24:25]
	v_mul_f64 v[102:103], v[102:103], s[14:15]
	;; [unrolled: 1-line block ×3, first 2 shown]
	v_add_f64 v[76:77], v[79:80], v[151:152]
	v_fma_f64 v[80:81], v[81:82], s[16:17], v[85:86]
	v_add_f64 v[4:5], v[74:75], v[4:5]
	v_add_f64 v[78:79], v[32:33], v[130:131]
	;; [unrolled: 1-line block ×3, first 2 shown]
	v_fma_f64 v[74:75], v[83:84], s[26:27], -v[89:90]
	v_fma_f64 v[82:83], v[83:84], s[26:27], v[89:90]
	v_fma_f64 v[85:86], v[87:88], s[6:7], -v[145:146]
	v_add_f64 v[72:73], v[72:73], v[76:77]
	v_mul_f64 v[89:90], v[106:107], s[18:19]
	v_add_f64 v[4:5], v[80:81], v[4:5]
	v_add_f64 v[76:77], v[28:29], v[78:79]
	;; [unrolled: 1-line block ×3, first 2 shown]
	v_fma_f64 v[80:81], v[87:88], s[8:9], -v[96:97]
	v_fma_f64 v[87:88], v[87:88], s[8:9], v[96:97]
	v_fma_f64 v[163:164], v[98:99], s[8:9], v[159:160]
	v_add_f64 v[72:73], v[74:75], v[72:73]
	v_fma_f64 v[96:97], v[98:99], s[0:1], v[102:103]
	v_add_f64 v[4:5], v[82:83], v[4:5]
	v_add_f64 v[74:75], v[24:25], v[76:77]
	;; [unrolled: 1-line block ×3, first 2 shown]
	v_fma_f64 v[82:83], v[98:99], s[0:1], -v[102:103]
	v_fma_f64 v[78:79], v[98:99], s[8:9], -v[159:160]
	v_mul_f64 v[136:137], v[108:109], s[18:19]
	v_add_f64 v[72:73], v[80:81], v[72:73]
	v_mul_f64 v[157:158], v[108:109], s[50:51]
	v_add_f64 v[4:5], v[87:88], v[4:5]
	v_add_f64 v[74:75], v[20:21], v[74:75]
	;; [unrolled: 1-line block ×3, first 2 shown]
	v_mul_f64 v[84:85], v[108:109], s[40:41]
	v_fma_f64 v[86:87], v[100:101], s[6:7], -v[89:90]
	v_fma_f64 v[80:81], v[100:101], s[16:17], -v[155:156]
	v_add_f64 v[72:73], v[82:83], v[72:73]
	v_fma_f64 v[161:162], v[100:101], s[16:17], v[155:156]
	v_fma_f64 v[88:89], v[100:101], s[6:7], v[89:90]
	v_add_f64 v[74:75], v[16:17], v[74:75]
	v_add_f64 v[76:77], v[78:79], v[76:77]
	;; [unrolled: 1-line block ×4, first 2 shown]
	v_fma_f64 v[90:91], v[104:105], s[36:37], -v[84:85]
	v_add_f64 v[72:73], v[86:87], v[72:73]
	v_fma_f64 v[153:154], v[104:105], s[6:7], v[136:137]
	v_fma_f64 v[136:137], v[104:105], s[6:7], -v[136:137]
	v_add_f64 v[74:75], v[12:13], v[74:75]
	v_fma_f64 v[82:83], v[104:105], s[22:23], -v[157:158]
	v_add_f64 v[76:77], v[80:81], v[76:77]
	v_fma_f64 v[138:139], v[104:105], s[42:43], -v[138:139]
	v_fma_f64 v[80:81], v[104:105], s[22:23], v[157:158]
	v_add_f64 v[78:79], v[161:162], v[78:79]
	v_fma_f64 v[84:85], v[104:105], s[36:37], v[84:85]
	v_add_f64 v[4:5], v[88:89], v[4:5]
	v_add_f64 v[72:73], v[90:91], v[72:73]
	;; [unrolled: 1-line block ×7, first 2 shown]
	v_mul_u32_u24_e32 v80, 0x88, v143
	v_add_f64 v[88:89], v[153:154], v[134:135]
	v_add3_u32 v80, 0, v80, v144
	v_add_f64 v[4:5], v[84:85], v[4:5]
	ds_write2_b64 v80, v[74:75], v[72:73] offset1:1
	ds_write2_b64 v80, v[76:77], v[86:87] offset0:2 offset1:3
	ds_write2_b64 v80, v[82:83], v[118:119] offset0:4 offset1:5
	;; [unrolled: 1-line block ×7, first 2 shown]
	ds_write_b64 v80, v[4:5] offset:128
.LBB0_14:
	s_or_b64 exec, exec, s[38:39]
	v_lshlrev_b32_e32 v4, 3, v143
	v_add_u32_e32 v140, 0, v4
	v_add_u32_e32 v139, v140, v144
	v_add3_u32 v138, 0, v144, v4
	v_add_u32_e32 v4, 0x400, v139
	s_waitcnt lgkmcnt(0)
	s_barrier
	ds_read2_b64 v[76:79], v139 offset0:187 offset1:221
	ds_read2_b64 v[80:83], v139 offset0:34 offset1:68
	;; [unrolled: 1-line block ×4, first 2 shown]
	ds_read_b64 v[98:99], v138
	ds_read_b64 v[96:97], v139 offset:2584
	v_cmp_gt_u32_e64 s[0:1], 17, v143
	s_and_saveexec_b64 s[6:7], s[0:1]
	s_cbranch_execz .LBB0_16
; %bb.15:
	ds_read2_b64 v[0:3], v4 offset0:42 offset1:229
.LBB0_16:
	s_or_b64 exec, exec, s[6:7]
	v_add_f64 v[124:125], v[68:69], -v[8:9]
	s_mov_b32 s8, 0x6c9a05f6
	s_mov_b32 s9, 0xbfe9895b
	v_add_f64 v[114:115], v[10:11], v[70:71]
	v_add_f64 v[134:135], v[64:65], -v[12:13]
	s_mov_b32 s6, 0x6ed5f1bb
	s_mov_b32 s14, 0x4363dd80
	;; [unrolled: 1-line block ×3, first 2 shown]
	v_mul_f64 v[128:129], v[124:125], s[8:9]
	s_mov_b32 s7, 0xbfe348c8
	s_mov_b32 s15, 0xbfe0d888
	s_mov_b32 s43, 0x3feec746
	v_add_f64 v[122:123], v[14:15], v[66:67]
	v_mul_f64 v[132:133], v[124:125], s[14:15]
	v_mul_f64 v[130:131], v[134:135], s[42:43]
	s_mov_b32 s16, 0x910ea3b9
	v_fma_f64 v[4:5], v[114:115], s[6:7], -v[128:129]
	s_mov_b32 s22, 0xc61f0d01
	s_mov_b32 s38, 0x7c9e640b
	;; [unrolled: 1-line block ×5, first 2 shown]
	v_add_f64 v[118:119], v[60:61], -v[16:17]
	v_fma_f64 v[8:9], v[114:115], s[16:17], -v[132:133]
	v_fma_f64 v[12:13], v[122:123], s[22:23], -v[130:131]
	v_add_f64 v[4:5], v[6:7], v[4:5]
	v_mul_f64 v[136:137], v[134:135], s[38:39]
	s_mov_b32 s30, 0x5d8e7cdc
	s_mov_b32 s36, 0x2b2883cd
	;; [unrolled: 1-line block ×6, first 2 shown]
	v_add_f64 v[112:113], v[18:19], v[62:63]
	v_mul_f64 v[120:121], v[118:119], s[30:31]
	v_add_f64 v[8:9], v[6:7], v[8:9]
	v_add_f64 v[4:5], v[12:13], v[4:5]
	v_fma_f64 v[12:13], v[122:123], s[36:37], -v[136:137]
	v_add_f64 v[108:109], v[56:57], -v[20:21]
	v_mul_f64 v[126:127], v[118:119], s[44:45]
	s_mov_b32 s28, 0x370991
	s_mov_b32 s18, 0x3259b75e
	;; [unrolled: 1-line block ×6, first 2 shown]
	v_fma_f64 v[16:17], v[112:113], s[28:29], -v[120:121]
	v_add_f64 v[106:107], v[22:23], v[58:59]
	v_mul_f64 v[110:111], v[108:109], s[14:15]
	v_add_f64 v[8:9], v[12:13], v[8:9]
	v_fma_f64 v[12:13], v[112:113], s[18:19], -v[126:127]
	v_add_f64 v[100:101], v[52:53], -v[24:25]
	v_mul_f64 v[116:117], v[108:109], s[48:49]
	s_mov_b32 s25, 0x3fefdd0d
	s_mov_b32 s24, s44
	v_add_f64 v[4:5], v[16:17], v[4:5]
	v_fma_f64 v[16:17], v[106:107], s[16:17], -v[110:111]
	v_add_f64 v[68:69], v[26:27], v[54:55]
	v_add_f64 v[8:9], v[12:13], v[8:9]
	v_mul_f64 v[104:105], v[100:101], s[24:25]
	v_fma_f64 v[12:13], v[106:107], s[6:7], -v[116:117]
	v_mul_f64 v[102:103], v[100:101], s[30:31]
	v_add_f64 v[56:57], v[48:49], -v[28:29]
	s_mov_b32 s56, 0x2a9d6da3
	s_mov_b32 s50, 0xacd6c6b4
	;; [unrolled: 1-line block ×4, first 2 shown]
	v_add_f64 v[4:5], v[16:17], v[4:5]
	v_fma_f64 v[16:17], v[68:69], s[18:19], -v[104:105]
	v_add_f64 v[8:9], v[12:13], v[8:9]
	v_fma_f64 v[12:13], v[68:69], s[28:29], -v[102:103]
	v_add_f64 v[52:53], v[30:31], v[50:51]
	v_mul_f64 v[60:61], v[56:57], s[56:57]
	v_mul_f64 v[64:65], v[56:57], s[50:51]
	v_add_f64 v[32:33], v[44:45], -v[32:33]
	s_mov_b32 s34, 0x75d4884
	s_mov_b32 s46, 0x7faef3
	;; [unrolled: 1-line block ×6, first 2 shown]
	v_add_f64 v[4:5], v[16:17], v[4:5]
	v_add_f64 v[12:13], v[12:13], v[8:9]
	v_fma_f64 v[16:17], v[52:53], s[34:35], -v[60:61]
	v_fma_f64 v[24:25], v[52:53], s[46:47], -v[64:65]
	v_add_f64 v[20:21], v[34:35], v[46:47]
	v_mul_f64 v[48:49], v[32:33], s[50:51]
	v_mul_f64 v[44:45], v[32:33], s[40:41]
	v_add_f64 v[8:9], v[40:41], -v[36:37]
	s_mov_b32 s53, 0xbfeec746
	s_mov_b32 s52, s42
	v_add_f64 v[28:29], v[16:17], v[4:5]
	v_add_f64 v[24:25], v[24:25], v[12:13]
	;; [unrolled: 1-line block ×3, first 2 shown]
	v_fma_f64 v[36:37], v[20:21], s[46:47], -v[48:49]
	v_fma_f64 v[40:41], v[20:21], s[34:35], -v[44:45]
	v_mul_f64 v[12:13], v[8:9], s[38:39]
	v_mul_f64 v[16:17], v[8:9], s[52:53]
	s_waitcnt lgkmcnt(0)
	s_barrier
	v_add_f64 v[28:29], v[36:37], v[28:29]
	v_add_f64 v[24:25], v[40:41], v[24:25]
	v_fma_f64 v[36:37], v[4:5], s[36:37], -v[12:13]
	v_fma_f64 v[40:41], v[4:5], s[22:23], -v[16:17]
	v_add_f64 v[90:91], v[36:37], v[28:29]
	v_add_f64 v[88:89], v[40:41], v[24:25]
	s_and_saveexec_b64 s[26:27], s[2:3]
	s_cbranch_execz .LBB0_18
; %bb.17:
	v_add_f64 v[24:25], v[70:71], v[6:7]
	v_mul_f64 v[165:166], v[124:125], s[30:31]
	v_mul_f64 v[167:168], v[124:125], s[56:57]
	;; [unrolled: 1-line block ×7, first 2 shown]
	v_add_f64 v[24:25], v[66:67], v[24:25]
	v_mul_f64 v[175:176], v[134:135], s[44:45]
	v_mul_f64 v[179:180], v[134:135], s[50:51]
	v_fma_f64 v[189:190], v[114:115], s[28:29], v[165:166]
	v_fma_f64 v[191:192], v[114:115], s[18:19], v[169:170]
	s_mov_b32 s55, 0xbfeca52d
	s_mov_b32 s54, s38
	s_mov_b32 s57, 0x3fe0d888
	v_add_f64 v[62:63], v[62:63], v[24:25]
	s_mov_b32 s56, s14
	v_mul_f64 v[70:71], v[122:123], s[22:23]
	v_mul_f64 v[145:146], v[122:123], s[36:37]
	;; [unrolled: 1-line block ×4, first 2 shown]
	v_add_f64 v[36:37], v[36:37], v[128:129]
	v_add_f64 v[40:41], v[40:41], v[132:133]
	;; [unrolled: 1-line block ×3, first 2 shown]
	v_mul_f64 v[62:63], v[124:125], s[52:53]
	v_mul_f64 v[124:125], v[124:125], s[54:55]
	v_fma_f64 v[128:129], v[114:115], s[46:47], -v[171:172]
	v_fma_f64 v[132:133], v[122:123], s[34:35], v[173:174]
	v_fma_f64 v[195:196], v[122:123], s[46:47], v[179:180]
	s_mov_b32 s3, 0x3fd71e95
	s_mov_b32 s2, s30
	v_add_f64 v[54:55], v[54:55], v[58:59]
	v_mul_f64 v[58:59], v[118:119], s[8:9]
	v_fma_f64 v[193:194], v[114:115], s[22:23], v[62:63]
	v_fma_f64 v[62:63], v[114:115], s[22:23], -v[62:63]
	v_mul_f64 v[147:148], v[112:113], s[28:29]
	v_mul_f64 v[177:178], v[134:135], s[8:9]
	;; [unrolled: 1-line block ×4, first 2 shown]
	v_add_f64 v[50:51], v[50:51], v[54:55]
	v_mul_f64 v[54:55], v[118:119], s[40:41]
	v_fma_f64 v[169:170], v[114:115], s[18:19], -v[169:170]
	v_add_f64 v[70:71], v[70:71], v[130:131]
	v_add_f64 v[130:131], v[145:146], v[136:137]
	v_fma_f64 v[136:137], v[114:115], s[36:37], v[124:125]
	v_fma_f64 v[145:146], v[122:123], s[16:17], -v[183:184]
	v_add_f64 v[189:190], v[6:7], v[189:190]
	v_add_f64 v[46:47], v[46:47], v[50:51]
	v_fma_f64 v[50:51], v[114:115], s[28:29], -v[165:166]
	v_fma_f64 v[165:166], v[114:115], s[34:35], v[167:168]
	v_fma_f64 v[167:168], v[114:115], s[34:35], -v[167:168]
	v_add_f64 v[62:63], v[6:7], v[62:63]
	v_add_f64 v[36:37], v[6:7], v[36:37]
	s_mov_b32 s59, 0x3fc7851a
	s_mov_b32 s58, s50
	v_add_f64 v[42:43], v[42:43], v[46:47]
	v_fma_f64 v[46:47], v[114:115], s[46:47], v[171:172]
	v_fma_f64 v[171:172], v[122:123], s[34:35], -v[173:174]
	v_fma_f64 v[173:174], v[122:123], s[18:19], v[175:176]
	v_fma_f64 v[114:115], v[114:115], s[36:37], -v[124:125]
	v_mul_f64 v[149:150], v[112:113], s[18:19]
	v_mul_f64 v[187:188], v[118:119], s[58:59]
	v_fma_f64 v[179:180], v[122:123], s[46:47], -v[179:180]
	v_add_f64 v[38:39], v[38:39], v[42:43]
	v_fma_f64 v[42:43], v[122:123], s[18:19], -v[175:176]
	v_fma_f64 v[175:176], v[122:123], s[6:7], v[177:178]
	v_fma_f64 v[177:178], v[122:123], s[6:7], -v[177:178]
	v_fma_f64 v[124:125], v[122:123], s[16:17], v[183:184]
	v_fma_f64 v[183:184], v[122:123], s[28:29], v[134:135]
	v_add_f64 v[50:51], v[6:7], v[50:51]
	v_add_f64 v[169:170], v[6:7], v[169:170]
	;; [unrolled: 1-line block ×3, first 2 shown]
	v_fma_f64 v[38:39], v[112:113], s[6:7], v[58:59]
	v_fma_f64 v[58:59], v[112:113], s[6:7], -v[58:59]
	v_add_f64 v[62:63], v[145:146], v[62:63]
	v_add_f64 v[36:37], v[70:71], v[36:37]
	v_mul_f64 v[70:71], v[118:119], s[14:15]
	v_mul_f64 v[118:119], v[108:109], s[44:45]
	v_add_f64 v[50:51], v[171:172], v[50:51]
	v_add_f64 v[30:31], v[30:31], v[34:35]
	v_fma_f64 v[34:35], v[122:123], s[28:29], -v[134:135]
	v_fma_f64 v[122:123], v[112:113], s[36:37], v[185:186]
	v_fma_f64 v[134:135], v[112:113], s[36:37], -v[185:186]
	v_fma_f64 v[185:186], v[112:113], s[46:47], v[187:188]
	v_fma_f64 v[187:188], v[112:113], s[46:47], -v[187:188]
	v_mul_f64 v[66:67], v[106:107], s[6:7]
	v_mul_f64 v[151:152], v[106:107], s[16:17]
	v_add_f64 v[26:27], v[26:27], v[30:31]
	v_add_f64 v[30:31], v[6:7], v[165:166]
	v_add_f64 v[165:166], v[6:7], v[167:168]
	v_add_f64 v[167:168], v[6:7], v[191:192]
	v_add_f64 v[191:192], v[6:7], v[193:194]
	v_add_f64 v[50:51], v[134:135], v[50:51]
	v_mul_f64 v[155:156], v[68:69], s[28:29]
	v_add_f64 v[110:111], v[151:152], v[110:111]
	v_add_f64 v[22:23], v[22:23], v[26:27]
	;; [unrolled: 1-line block ×20, first 2 shown]
	v_fma_f64 v[58:59], v[112:113], s[34:35], v[54:55]
	v_add_f64 v[26:27], v[183:184], v[40:41]
	v_add_f64 v[40:41], v[175:176], v[128:129]
	;; [unrolled: 1-line block ×3, first 2 shown]
	v_fma_f64 v[38:39], v[112:113], s[22:23], -v[181:182]
	v_add_f64 v[10:11], v[10:11], v[14:15]
	v_fma_f64 v[14:15], v[112:113], s[22:23], v[181:182]
	v_add_f64 v[18:19], v[114:115], v[18:19]
	v_mul_f64 v[114:115], v[108:109], s[2:3]
	v_add_f64 v[58:59], v[58:59], v[124:125]
	v_add_f64 v[40:41], v[185:186], v[40:41]
	v_mul_f64 v[153:154], v[68:69], s[18:19]
	v_add_f64 v[38:39], v[38:39], v[132:133]
	v_add_f64 v[102:103], v[155:156], v[102:103]
	v_add_f64 v[14:15], v[14:15], v[42:43]
	v_fma_f64 v[42:43], v[112:113], s[34:35], -v[54:55]
	v_add_f64 v[54:55], v[147:148], v[120:121]
	v_fma_f64 v[120:121], v[112:113], s[16:17], v[70:71]
	v_fma_f64 v[70:71], v[112:113], s[16:17], -v[70:71]
	v_mul_f64 v[112:113], v[108:109], s[42:43]
	v_mul_f64 v[157:158], v[52:53], s[34:35]
	;; [unrolled: 1-line block ×3, first 2 shown]
	v_add_f64 v[6:7], v[177:178], v[6:7]
	v_add_f64 v[42:43], v[42:43], v[62:63]
	;; [unrolled: 1-line block ×3, first 2 shown]
	v_mul_f64 v[54:55], v[108:109], s[50:51]
	v_fma_f64 v[62:63], v[106:107], s[18:19], v[118:119]
	v_add_f64 v[26:27], v[120:121], v[26:27]
	v_add_f64 v[34:35], v[70:71], v[34:35]
	v_fma_f64 v[70:71], v[106:107], s[18:19], -v[118:119]
	v_mul_f64 v[120:121], v[108:109], s[54:55]
	v_mul_f64 v[108:109], v[108:109], s[40:41]
	v_add_f64 v[36:37], v[110:111], v[36:37]
	v_fma_f64 v[118:119], v[106:107], s[46:47], v[54:55]
	v_fma_f64 v[54:55], v[106:107], s[46:47], -v[54:55]
	v_add_f64 v[46:47], v[62:63], v[46:47]
	v_fma_f64 v[62:63], v[106:107], s[22:23], v[112:113]
	v_add_f64 v[50:51], v[70:71], v[50:51]
	v_fma_f64 v[70:71], v[106:107], s[28:29], v[114:115]
	v_fma_f64 v[112:113], v[106:107], s[22:23], -v[112:113]
	v_mul_f64 v[110:111], v[100:101], s[50:51]
	v_add_f64 v[60:61], v[157:158], v[60:61]
	v_add_f64 v[30:31], v[54:55], v[30:31]
	v_fma_f64 v[54:55], v[106:107], s[28:29], -v[114:115]
	v_add_f64 v[40:41], v[62:63], v[40:41]
	v_fma_f64 v[62:63], v[106:107], s[36:37], v[120:121]
	v_add_f64 v[14:15], v[70:71], v[14:15]
	v_fma_f64 v[70:71], v[106:107], s[36:37], -v[120:121]
	v_add_f64 v[64:65], v[159:160], v[64:65]
	v_add_f64 v[22:23], v[118:119], v[22:23]
	v_mul_f64 v[161:162], v[20:21], s[46:47]
	v_add_f64 v[38:39], v[54:55], v[38:39]
	v_add_f64 v[54:55], v[66:67], v[116:117]
	v_mul_f64 v[66:67], v[100:101], s[52:53]
	v_add_f64 v[58:59], v[62:63], v[58:59]
	v_fma_f64 v[62:63], v[106:107], s[34:35], v[108:109]
	v_fma_f64 v[106:107], v[106:107], s[34:35], -v[108:109]
	v_add_f64 v[42:43], v[70:71], v[42:43]
	v_mul_f64 v[70:71], v[100:101], s[56:57]
	v_mul_f64 v[108:109], v[100:101], s[40:41]
	v_add_f64 v[18:19], v[54:55], v[18:19]
	v_fma_f64 v[54:55], v[68:69], s[22:23], v[66:67]
	v_mul_f64 v[163:164], v[20:21], s[34:35]
	v_add_f64 v[26:27], v[62:63], v[26:27]
	v_fma_f64 v[62:63], v[68:69], s[22:23], -v[66:67]
	v_mul_f64 v[66:67], v[100:101], s[54:55]
	v_add_f64 v[34:35], v[106:107], v[34:35]
	v_fma_f64 v[106:107], v[68:69], s[16:17], v[70:71]
	v_fma_f64 v[70:71], v[68:69], s[16:17], -v[70:71]
	v_add_f64 v[46:47], v[54:55], v[46:47]
	v_fma_f64 v[54:55], v[68:69], s[34:35], v[108:109]
	v_fma_f64 v[108:109], v[68:69], s[34:35], -v[108:109]
	;; [unrolled: 3-line block ×3, first 2 shown]
	v_add_f64 v[18:19], v[102:103], v[18:19]
	v_add_f64 v[30:31], v[70:71], v[30:31]
	v_mul_f64 v[70:71], v[100:101], s[8:9]
	v_add_f64 v[40:41], v[54:55], v[40:41]
	v_fma_f64 v[54:55], v[68:69], s[46:47], v[110:111]
	v_add_f64 v[100:101], v[153:154], v[104:105]
	v_add_f64 v[14:15], v[62:63], v[14:15]
	v_fma_f64 v[62:63], v[68:69], s[46:47], -v[110:111]
	v_add_f64 v[38:39], v[66:67], v[38:39]
	v_mul_f64 v[66:67], v[56:57], s[8:9]
	v_mul_f64 v[102:103], v[56:57], s[24:25]
	v_add_f64 v[18:19], v[64:65], v[18:19]
	v_add_f64 v[54:55], v[54:55], v[58:59]
	v_fma_f64 v[58:59], v[68:69], s[6:7], v[70:71]
	v_fma_f64 v[68:69], v[68:69], s[6:7], -v[70:71]
	v_add_f64 v[42:43], v[62:63], v[42:43]
	v_mul_f64 v[62:63], v[56:57], s[42:43]
	v_fma_f64 v[70:71], v[52:53], s[6:7], v[66:67]
	v_add_f64 v[36:37], v[100:101], v[36:37]
	v_mul_f64 v[100:101], v[56:57], s[30:31]
	v_mul_f64 v[64:65], v[32:33], s[48:49]
	v_add_f64 v[26:27], v[58:59], v[26:27]
	v_add_f64 v[34:35], v[68:69], v[34:35]
	v_fma_f64 v[58:59], v[52:53], s[6:7], -v[66:67]
	v_mul_f64 v[66:67], v[56:57], s[14:15]
	v_fma_f64 v[68:69], v[52:53], s[22:23], v[62:63]
	v_fma_f64 v[62:63], v[52:53], s[22:23], -v[62:63]
	v_mul_f64 v[56:57], v[56:57], s[38:39]
	v_add_f64 v[46:47], v[70:71], v[46:47]
	v_fma_f64 v[70:71], v[52:53], s[28:29], v[100:101]
	v_fma_f64 v[100:101], v[52:53], s[28:29], -v[100:101]
	v_add_f64 v[50:51], v[58:59], v[50:51]
	v_fma_f64 v[58:59], v[52:53], s[16:17], v[66:67]
	v_fma_f64 v[66:67], v[52:53], s[16:17], -v[66:67]
	v_add_f64 v[30:31], v[62:63], v[30:31]
	v_fma_f64 v[62:63], v[52:53], s[18:19], v[102:103]
	v_add_f64 v[36:37], v[60:61], v[36:37]
	v_mul_f64 v[60:61], v[32:33], s[44:45]
	v_add_f64 v[22:23], v[106:107], v[22:23]
	v_add_f64 v[40:41], v[70:71], v[40:41]
	;; [unrolled: 1-line block ×3, first 2 shown]
	v_fma_f64 v[58:59], v[52:53], s[18:19], -v[102:103]
	v_add_f64 v[38:39], v[66:67], v[38:39]
	v_mul_f64 v[66:67], v[32:33], s[14:15]
	v_add_f64 v[54:55], v[62:63], v[54:55]
	v_fma_f64 v[62:63], v[52:53], s[36:37], v[56:57]
	v_fma_f64 v[52:53], v[52:53], s[36:37], -v[56:57]
	v_mul_f64 v[56:57], v[32:33], s[38:39]
	v_add_f64 v[6:7], v[187:188], v[6:7]
	v_add_f64 v[42:43], v[58:59], v[42:43]
	;; [unrolled: 1-line block ×3, first 2 shown]
	v_fma_f64 v[58:59], v[20:21], s[16:17], v[66:67]
	v_add_f64 v[48:49], v[161:162], v[48:49]
	v_add_f64 v[26:27], v[62:63], v[26:27]
	;; [unrolled: 1-line block ×3, first 2 shown]
	v_fma_f64 v[52:53], v[20:21], s[16:17], -v[66:67]
	v_fma_f64 v[62:63], v[20:21], s[36:37], v[56:57]
	v_fma_f64 v[56:57], v[20:21], s[36:37], -v[56:57]
	v_mul_f64 v[66:67], v[32:33], s[30:31]
	v_add_f64 v[46:47], v[58:59], v[46:47]
	v_fma_f64 v[58:59], v[20:21], s[18:19], v[60:61]
	v_mul_f64 v[32:33], v[32:33], s[52:53]
	v_add_f64 v[44:45], v[163:164], v[44:45]
	v_add_f64 v[50:51], v[52:53], v[50:51]
	v_fma_f64 v[52:53], v[20:21], s[6:7], v[64:65]
	v_add_f64 v[30:31], v[56:57], v[30:31]
	v_fma_f64 v[56:57], v[20:21], s[28:29], v[66:67]
	v_add_f64 v[6:7], v[112:113], v[6:7]
	v_add_f64 v[40:41], v[58:59], v[40:41]
	v_fma_f64 v[58:59], v[20:21], s[28:29], -v[66:67]
	v_fma_f64 v[60:61], v[20:21], s[18:19], -v[60:61]
	v_add_f64 v[22:23], v[62:63], v[22:23]
	v_add_f64 v[14:15], v[52:53], v[14:15]
	v_mul_f64 v[52:53], v[8:9], s[50:51]
	v_fma_f64 v[62:63], v[20:21], s[6:7], -v[64:65]
	v_add_f64 v[54:55], v[56:57], v[54:55]
	v_fma_f64 v[56:57], v[20:21], s[22:23], v[32:33]
	v_add_f64 v[42:43], v[58:59], v[42:43]
	v_fma_f64 v[20:21], v[20:21], s[22:23], -v[32:33]
	v_mul_f64 v[32:33], v[8:9], s[2:3]
	v_add_f64 v[36:37], v[48:49], v[36:37]
	v_fma_f64 v[48:49], v[4:5], s[46:47], v[52:53]
	v_mul_f64 v[58:59], v[8:9], s[14:15]
	v_add_f64 v[18:19], v[44:45], v[18:19]
	v_fma_f64 v[44:45], v[4:5], s[46:47], -v[52:53]
	v_add_f64 v[6:7], v[108:109], v[6:7]
	v_add_f64 v[26:27], v[56:57], v[26:27]
	;; [unrolled: 1-line block ×3, first 2 shown]
	v_fma_f64 v[34:35], v[4:5], s[28:29], v[32:33]
	v_fma_f64 v[32:33], v[4:5], s[28:29], -v[32:33]
	v_add_f64 v[46:47], v[48:49], v[46:47]
	v_fma_f64 v[48:49], v[4:5], s[16:17], v[58:59]
	v_mul_f64 v[56:57], v[8:9], s[40:41]
	v_add_f64 v[44:45], v[44:45], v[50:51]
	v_mul_f64 v[50:51], v[8:9], s[8:9]
	v_mul_f64 v[24:25], v[4:5], s[36:37]
	;; [unrolled: 1-line block ×4, first 2 shown]
	v_add_f64 v[6:7], v[100:101], v[6:7]
	v_add_f64 v[22:23], v[34:35], v[22:23]
	;; [unrolled: 1-line block ×4, first 2 shown]
	v_fma_f64 v[34:35], v[4:5], s[34:35], v[56:57]
	v_fma_f64 v[48:49], v[4:5], s[6:7], v[50:51]
	v_add_f64 v[12:13], v[24:25], v[12:13]
	v_add_f64 v[16:17], v[28:29], v[16:17]
	v_fma_f64 v[24:25], v[4:5], s[18:19], v[8:9]
	v_fma_f64 v[8:9], v[4:5], s[18:19], -v[8:9]
	v_add_f64 v[38:39], v[62:63], v[38:39]
	v_fma_f64 v[52:53], v[4:5], s[16:17], -v[58:59]
	v_fma_f64 v[40:41], v[4:5], s[34:35], -v[56:57]
	;; [unrolled: 1-line block ×3, first 2 shown]
	v_add_f64 v[6:7], v[60:61], v[6:7]
	v_add_f64 v[14:15], v[34:35], v[14:15]
	;; [unrolled: 1-line block ×9, first 2 shown]
	v_lshlrev_b32_e32 v20, 7, v143
	v_add_f64 v[6:7], v[52:53], v[6:7]
	v_add3_u32 v20, v140, v20, v144
	ds_write2_b64 v20, v[10:11], v[46:47] offset1:1
	ds_write2_b64 v20, v[22:23], v[32:33] offset0:2 offset1:3
	ds_write2_b64 v20, v[14:15], v[34:35] offset0:4 offset1:5
	;; [unrolled: 1-line block ×7, first 2 shown]
	ds_write_b64 v20, v[44:45] offset:128
.LBB0_18:
	s_or_b64 exec, exec, s[26:27]
	v_add_u32_e32 v20, 0x400, v139
	s_waitcnt lgkmcnt(0)
	s_barrier
	ds_read2_b64 v[4:7], v139 offset0:187 offset1:221
	ds_read2_b64 v[8:11], v139 offset0:34 offset1:68
	;; [unrolled: 1-line block ×4, first 2 shown]
	ds_read_b64 v[44:45], v138
	ds_read_b64 v[46:47], v139 offset:2584
	s_and_saveexec_b64 s[2:3], s[0:1]
	s_cbranch_execz .LBB0_20
; %bb.19:
	ds_read2_b64 v[88:91], v20 offset0:42 offset1:229
.LBB0_20:
	s_or_b64 exec, exec, s[2:3]
	v_subrev_u32_e32 v20, 17, v143
	v_cndmask_b32_e64 v49, v20, v143, s[0:1]
	v_mov_b32_e32 v50, 0
	v_lshlrev_b64 v[20:21], 4, v[49:50]
	v_mov_b32_e32 v22, s13
	v_add_co_u32_e64 v28, s[2:3], s12, v20
	v_addc_co_u32_e64 v29, s[2:3], v22, v21, s[2:3]
	v_add_u16_e32 v20, 34, v143
	s_movk_i32 s2, 0xf1
	v_mul_lo_u16_sdwa v21, v20, s2 dst_sel:DWORD dst_unused:UNUSED_PAD src0_sel:BYTE_0 src1_sel:DWORD
	v_lshrrev_b16_e32 v50, 12, v21
	v_mul_lo_u16_e32 v21, 17, v50
	v_sub_u16_e32 v61, v20, v21
	v_mov_b32_e32 v30, 4
	v_lshlrev_b32_sdwa v31, v30, v61 dst_sel:DWORD dst_unused:UNUSED_PAD src0_sel:DWORD src1_sel:BYTE_0
	global_load_dwordx4 v[20:23], v[28:29], off
	global_load_dwordx4 v[24:27], v31, s[12:13]
	v_add_u16_e32 v28, 0x44, v143
	v_mul_lo_u16_sdwa v29, v28, s2 dst_sel:DWORD dst_unused:UNUSED_PAD src0_sel:BYTE_0 src1_sel:DWORD
	v_lshrrev_b16_e32 v51, 12, v29
	v_mul_lo_u16_e32 v29, 17, v51
	v_sub_u16_e32 v62, v28, v29
	v_add_u16_e32 v29, 0x66, v143
	v_mul_lo_u16_sdwa v31, v29, s2 dst_sel:DWORD dst_unused:UNUSED_PAD src0_sel:BYTE_0 src1_sel:DWORD
	v_lshrrev_b16_e32 v52, 12, v31
	v_mul_lo_u16_e32 v31, 17, v52
	v_lshlrev_b32_sdwa v28, v30, v62 dst_sel:DWORD dst_unused:UNUSED_PAD src0_sel:DWORD src1_sel:BYTE_0
	v_sub_u16_e32 v63, v29, v31
	v_lshlrev_b32_sdwa v29, v30, v63 dst_sel:DWORD dst_unused:UNUSED_PAD src0_sel:DWORD src1_sel:BYTE_0
	global_load_dwordx4 v[32:35], v28, s[12:13]
	global_load_dwordx4 v[36:39], v29, s[12:13]
	v_add_u16_e32 v28, 0x88, v143
	v_mul_lo_u16_sdwa v29, v28, s2 dst_sel:DWORD dst_unused:UNUSED_PAD src0_sel:BYTE_0 src1_sel:DWORD
	v_lshrrev_b16_e32 v64, 12, v29
	v_mul_lo_u16_e32 v29, 17, v64
	v_sub_u16_e32 v65, v28, v29
	v_lshlrev_b32_sdwa v28, v30, v65 dst_sel:DWORD dst_unused:UNUSED_PAD src0_sel:DWORD src1_sel:BYTE_0
	global_load_dwordx4 v[40:43], v28, s[12:13]
	v_add_u16_e32 v28, 0xaa, v143
	v_mul_lo_u16_sdwa v29, v28, s2 dst_sel:DWORD dst_unused:UNUSED_PAD src0_sel:BYTE_0 src1_sel:DWORD
	v_lshrrev_b16_e32 v29, 12, v29
	v_mul_lo_u16_e32 v29, 17, v29
	v_sub_u16_e32 v48, v28, v29
	v_lshlrev_b32_sdwa v28, v30, v48 dst_sel:DWORD dst_unused:UNUSED_PAD src0_sel:DWORD src1_sel:BYTE_0
	global_load_dwordx4 v[28:31], v28, s[12:13]
	v_mov_b32_e32 v53, 0x110
	v_cmp_lt_u32_e64 s[2:3], 16, v143
	s_movk_i32 s6, 0x110
	v_cndmask_b32_e64 v53, 0, v53, s[2:3]
	v_add_u32_e32 v53, 0, v53
	v_lshlrev_b32_e32 v49, 3, v49
	v_mad_u32_u24 v66, v50, s6, 0
	v_mad_u32_u24 v71, v51, s6, 0
	v_add3_u32 v49, v53, v49, v144
	v_mad_u32_u24 v100, v52, s6, 0
	v_mov_b32_e32 v54, 3
	v_lshlrev_b32_sdwa v67, v54, v61 dst_sel:DWORD dst_unused:UNUSED_PAD src0_sel:DWORD src1_sel:BYTE_0
	v_lshlrev_b32_sdwa v102, v54, v62 dst_sel:DWORD dst_unused:UNUSED_PAD src0_sel:DWORD src1_sel:BYTE_0
	v_mad_u32_u24 v101, v64, s6, 0
	v_lshlrev_b32_sdwa v103, v54, v63 dst_sel:DWORD dst_unused:UNUSED_PAD src0_sel:DWORD src1_sel:BYTE_0
	v_lshlrev_b32_sdwa v104, v54, v65 dst_sel:DWORD dst_unused:UNUSED_PAD src0_sel:DWORD src1_sel:BYTE_0
	s_waitcnt vmcnt(0) lgkmcnt(0)
	s_barrier
	v_mul_f64 v[50:51], v[4:5], v[22:23]
	v_mul_f64 v[52:53], v[6:7], v[26:27]
	v_fma_f64 v[50:51], v[76:77], v[20:21], -v[50:51]
	v_fma_f64 v[52:53], v[78:79], v[24:25], -v[52:53]
	v_mul_f64 v[55:56], v[16:17], v[34:35]
	v_mul_f64 v[57:58], v[18:19], v[38:39]
	v_add_f64 v[61:62], v[98:99], -v[50:51]
	v_add_f64 v[63:64], v[80:81], -v[52:53]
	v_add3_u32 v50, v66, v67, v144
	v_add3_u32 v51, v71, v102, v144
	;; [unrolled: 1-line block ×3, first 2 shown]
	v_mul_f64 v[59:60], v[46:47], v[42:43]
	v_fma_f64 v[55:56], v[72:73], v[32:33], -v[55:56]
	v_fma_f64 v[57:58], v[74:75], v[36:37], -v[57:58]
	v_fma_f64 v[65:66], v[98:99], 2.0, -v[61:62]
	v_fma_f64 v[67:68], v[80:81], 2.0, -v[63:64]
	v_add3_u32 v53, v101, v104, v144
	v_fma_f64 v[59:60], v[96:97], v[40:41], -v[59:60]
	v_add_f64 v[55:56], v[82:83], -v[55:56]
	v_add_f64 v[57:58], v[84:85], -v[57:58]
	;; [unrolled: 1-line block ×3, first 2 shown]
	v_fma_f64 v[69:70], v[82:83], 2.0, -v[55:56]
	v_fma_f64 v[80:81], v[84:85], 2.0, -v[57:58]
	;; [unrolled: 1-line block ×3, first 2 shown]
	ds_write2_b64 v49, v[65:66], v[61:62] offset1:17
	ds_write2_b64 v50, v[67:68], v[63:64] offset1:17
	;; [unrolled: 1-line block ×5, first 2 shown]
	s_and_saveexec_b64 s[2:3], s[0:1]
	s_cbranch_execz .LBB0_22
; %bb.21:
	v_mul_f64 v[55:56], v[90:91], v[30:31]
	v_lshlrev_b32_sdwa v54, v54, v48 dst_sel:DWORD dst_unused:UNUSED_PAD src0_sel:DWORD src1_sel:BYTE_0
	v_add3_u32 v54, 0, v54, v144
	v_add_u32_e32 v54, 0x800, v54
	v_fma_f64 v[55:56], v[2:3], v[28:29], -v[55:56]
	v_add_f64 v[55:56], v[0:1], -v[55:56]
	v_fma_f64 v[0:1], v[0:1], 2.0, -v[55:56]
	ds_write2_b64 v54, v[0:1], v[55:56] offset0:84 offset1:101
.LBB0_22:
	s_or_b64 exec, exec, s[2:3]
	v_mul_f64 v[0:1], v[76:77], v[22:23]
	v_mul_f64 v[22:23], v[78:79], v[26:27]
	;; [unrolled: 1-line block ×5, first 2 shown]
	s_waitcnt lgkmcnt(0)
	s_barrier
	v_fma_f64 v[0:1], v[4:5], v[20:21], v[0:1]
	v_fma_f64 v[4:5], v[6:7], v[24:25], v[22:23]
	v_fma_f64 v[6:7], v[16:17], v[32:33], v[26:27]
	v_fma_f64 v[16:17], v[18:19], v[36:37], v[34:35]
	v_fma_f64 v[18:19], v[46:47], v[40:41], v[38:39]
	v_add_f64 v[0:1], v[44:45], -v[0:1]
	v_add_f64 v[26:27], v[8:9], -v[4:5]
	;; [unrolled: 1-line block ×5, first 2 shown]
	ds_read_b64 v[24:25], v138
	ds_read2_b64 v[4:7], v139 offset0:34 offset1:68
	v_fma_f64 v[38:39], v[44:45], 2.0, -v[0:1]
	v_fma_f64 v[40:41], v[8:9], 2.0, -v[26:27]
	v_add_u32_e32 v8, 0x400, v139
	v_fma_f64 v[42:43], v[10:11], 2.0, -v[32:33]
	v_fma_f64 v[44:45], v[12:13], 2.0, -v[34:35]
	;; [unrolled: 1-line block ×3, first 2 shown]
	ds_read2_b64 v[12:15], v139 offset0:102 offset1:136
	ds_read2_b64 v[20:23], v139 offset0:170 offset1:204
	;; [unrolled: 1-line block ×3, first 2 shown]
	v_add_u32_e32 v8, 0x800, v139
	ds_read2_b64 v[8:11], v8 offset0:50 offset1:84
	s_waitcnt lgkmcnt(0)
	s_barrier
	ds_write2_b64 v49, v[38:39], v[0:1] offset1:17
	ds_write2_b64 v50, v[40:41], v[26:27] offset1:17
	;; [unrolled: 1-line block ×5, first 2 shown]
	s_and_saveexec_b64 s[2:3], s[0:1]
	s_cbranch_execz .LBB0_24
; %bb.23:
	v_mul_f64 v[0:1], v[2:3], v[30:31]
	v_mov_b32_e32 v26, 3
	v_lshlrev_b32_sdwa v26, v26, v48 dst_sel:DWORD dst_unused:UNUSED_PAD src0_sel:DWORD src1_sel:BYTE_0
	v_add3_u32 v26, 0, v26, v144
	v_add_u32_e32 v26, 0x800, v26
	v_fma_f64 v[0:1], v[90:91], v[28:29], v[0:1]
	v_add_f64 v[0:1], v[88:89], -v[0:1]
	v_fma_f64 v[2:3], v[88:89], 2.0, -v[0:1]
	ds_write2_b64 v26, v[2:3], v[0:1] offset0:84 offset1:101
.LBB0_24:
	s_or_b64 exec, exec, s[2:3]
	s_waitcnt lgkmcnt(0)
	s_barrier
	s_and_saveexec_b64 s[0:1], vcc
	s_cbranch_execz .LBB0_26
; %bb.25:
	v_mul_u32_u24_e32 v0, 10, v143
	v_lshlrev_b32_e32 v26, 4, v0
	global_load_dwordx4 v[0:3], v26, s[12:13] offset:336
	global_load_dwordx4 v[28:31], v26, s[12:13] offset:352
	;; [unrolled: 1-line block ×10, first 2 shown]
	v_add_u32_e32 v40, 0x400, v139
	ds_read2_b64 v[32:35], v139 offset0:170 offset1:204
	ds_read2_b64 v[70:73], v139 offset0:102 offset1:136
	;; [unrolled: 1-line block ×3, first 2 shown]
	v_add_u32_e32 v41, 0x800, v139
	ds_read_b64 v[26:27], v138
	ds_read2_b64 v[78:81], v40 offset0:110 offset1:144
	ds_read2_b64 v[82:85], v41 offset0:50 offset1:84
	v_mul_lo_u32 v120, s4, v95
	s_mov_b32 s12, 0x9bcd5057
	s_mov_b32 s28, 0xfd768dbf
	;; [unrolled: 1-line block ×30, first 2 shown]
	v_mul_lo_u32 v119, s5, v94
	s_waitcnt vmcnt(9)
	v_mul_f64 v[40:41], v[20:21], v[2:3]
	s_waitcnt vmcnt(8)
	v_mul_f64 v[86:87], v[22:23], v[30:31]
	s_waitcnt lgkmcnt(5)
	v_mul_f64 v[2:3], v[32:33], v[2:3]
	v_mul_f64 v[30:31], v[34:35], v[30:31]
	s_waitcnt vmcnt(6)
	v_mul_f64 v[90:91], v[16:17], v[44:45]
	s_waitcnt lgkmcnt(1)
	v_mul_f64 v[44:45], v[78:79], v[44:45]
	s_waitcnt vmcnt(5)
	v_mul_f64 v[97:98], v[12:13], v[48:49]
	s_waitcnt vmcnt(4)
	v_mul_f64 v[99:100], v[18:19], v[52:53]
	v_mul_f64 v[48:49], v[70:71], v[48:49]
	;; [unrolled: 1-line block ×3, first 2 shown]
	s_waitcnt vmcnt(2)
	v_mul_f64 v[103:104], v[8:9], v[60:61]
	s_waitcnt lgkmcnt(0)
	v_mul_f64 v[60:61], v[82:83], v[60:61]
	s_waitcnt vmcnt(1)
	v_mul_f64 v[105:106], v[4:5], v[64:65]
	s_waitcnt vmcnt(0)
	v_mul_f64 v[107:108], v[10:11], v[68:69]
	v_mul_f64 v[88:89], v[14:15], v[38:39]
	;; [unrolled: 1-line block ×6, first 2 shown]
	v_fma_f64 v[40:41], v[32:33], v[0:1], v[40:41]
	v_fma_f64 v[34:35], v[34:35], v[28:29], v[86:87]
	v_fma_f64 v[38:39], v[20:21], v[0:1], -v[2:3]
	v_fma_f64 v[32:33], v[22:23], v[28:29], -v[30:31]
	;; [unrolled: 1-line block ×3, first 2 shown]
	v_fma_f64 v[22:23], v[80:81], v[50:51], v[99:100]
	v_fma_f64 v[80:81], v[12:13], v[46:47], -v[48:49]
	v_fma_f64 v[20:21], v[18:19], v[50:51], -v[52:53]
	v_fma_f64 v[18:19], v[82:83], v[58:59], v[103:104]
	v_fma_f64 v[16:17], v[8:9], v[58:59], -v[60:61]
	v_fma_f64 v[58:59], v[74:75], v[62:63], v[105:106]
	v_fma_f64 v[12:13], v[84:85], v[66:67], v[107:108]
	v_mul_f64 v[56:57], v[76:77], v[56:57]
	v_fma_f64 v[30:31], v[78:79], v[42:43], v[90:91]
	v_fma_f64 v[78:79], v[14:15], v[36:37], -v[95:96]
	v_fma_f64 v[76:77], v[76:77], v[54:55], v[101:102]
	v_fma_f64 v[60:61], v[4:5], v[62:63], -v[64:65]
	v_fma_f64 v[14:15], v[10:11], v[66:67], -v[68:69]
	v_fma_f64 v[70:71], v[70:71], v[46:47], v[97:98]
	v_add_f64 v[68:69], v[58:59], v[12:13]
	v_add_f64 v[86:87], v[58:59], -v[12:13]
	v_fma_f64 v[82:83], v[6:7], v[54:55], -v[56:57]
	v_fma_f64 v[72:73], v[72:73], v[36:37], v[88:89]
	v_add_f64 v[84:85], v[76:77], v[18:19]
	v_add_f64 v[97:98], v[76:77], -v[18:19]
	v_add_f64 v[90:91], v[60:61], -v[14:15]
	v_add_f64 v[99:100], v[60:61], v[14:15]
	v_mul_f64 v[0:1], v[68:69], s[12:13]
	v_mul_f64 v[2:3], v[86:87], s[26:27]
	v_add_f64 v[66:67], v[70:71], v[22:23]
	v_add_f64 v[88:89], v[82:83], -v[16:17]
	v_add_f64 v[103:104], v[70:71], -v[22:23]
	v_add_f64 v[105:106], v[82:83], v[16:17]
	v_mul_f64 v[4:5], v[84:85], s[14:15]
	v_mul_f64 v[6:7], v[97:98], s[34:35]
	v_fma_f64 v[8:9], v[90:91], s[28:29], v[0:1]
	v_fma_f64 v[10:11], v[99:100], s[12:13], v[2:3]
	v_add_f64 v[64:65], v[72:73], v[30:31]
	v_add_f64 v[74:75], v[80:81], -v[20:21]
	v_add_f64 v[107:108], v[72:73], -v[30:31]
	v_add_f64 v[109:110], v[80:81], v[20:21]
	v_mul_f64 v[46:47], v[66:67], s[0:1]
	v_mul_f64 v[48:49], v[103:104], s[24:25]
	v_fma_f64 v[50:51], v[88:89], s[18:19], v[4:5]
	v_fma_f64 v[52:53], v[105:106], s[14:15], v[6:7]
	v_add_f64 v[8:9], v[26:27], v[8:9]
	v_fma_f64 v[0:1], v[90:91], s[26:27], v[0:1]
	v_add_f64 v[10:11], v[24:25], v[10:11]
	v_add_f64 v[62:63], v[40:41], v[34:35]
	v_add_f64 v[44:45], v[78:79], -v[28:29]
	v_add_f64 v[95:96], v[40:41], -v[34:35]
	v_add_f64 v[101:102], v[78:79], v[28:29]
	v_mul_f64 v[54:55], v[64:65], s[6:7]
	v_mul_f64 v[56:57], v[107:108], s[36:37]
	v_fma_f64 v[111:112], v[74:75], s[16:17], v[46:47]
	v_fma_f64 v[113:114], v[109:110], s[0:1], v[48:49]
	;; [unrolled: 1-line block ×3, first 2 shown]
	v_add_f64 v[8:9], v[50:51], v[8:9]
	v_add_f64 v[0:1], v[26:27], v[0:1]
	;; [unrolled: 1-line block ×3, first 2 shown]
	v_add_f64 v[36:37], v[38:39], -v[32:33]
	v_add_f64 v[42:43], v[38:39], v[32:33]
	v_mul_f64 v[50:51], v[62:63], s[2:3]
	v_mul_f64 v[52:53], v[95:96], s[22:23]
	v_fma_f64 v[115:116], v[44:45], s[8:9], v[54:55]
	v_fma_f64 v[117:118], v[101:102], s[6:7], v[56:57]
	;; [unrolled: 1-line block ×3, first 2 shown]
	v_add_f64 v[8:9], v[111:112], v[8:9]
	v_add_f64 v[0:1], v[4:5], v[0:1]
	v_add_f64 v[4:5], v[113:114], v[10:11]
	v_fma_f64 v[10:11], v[36:37], s[30:31], v[50:51]
	v_fma_f64 v[54:55], v[44:45], s[36:37], v[54:55]
	v_fma_f64 v[2:3], v[99:100], s[12:13], -v[2:3]
	v_mul_f64 v[113:114], v[68:69], s[0:1]
	v_fma_f64 v[50:51], v[36:37], s[22:23], v[50:51]
	v_add_f64 v[8:9], v[115:116], v[8:9]
	v_add_f64 v[0:1], v[46:47], v[0:1]
	v_fma_f64 v[46:47], v[42:43], s[2:3], v[52:53]
	v_add_f64 v[4:5], v[117:118], v[4:5]
	v_fma_f64 v[6:7], v[105:106], s[14:15], -v[6:7]
	v_add_f64 v[115:116], v[24:25], v[2:3]
	v_mad_u64_u32 v[111:112], s[4:5], s4, v94, 0
	v_add_f64 v[2:3], v[10:11], v[8:9]
	v_add_f64 v[54:55], v[54:55], v[0:1]
	v_mul_f64 v[8:9], v[86:87], s[24:25]
	v_add_f64 v[0:1], v[46:47], v[4:5]
	v_mul_f64 v[10:11], v[84:85], s[2:3]
	v_fma_f64 v[46:47], v[90:91], s[16:17], v[113:114]
	v_fma_f64 v[4:5], v[109:110], s[0:1], -v[48:49]
	v_add_f64 v[48:49], v[6:7], v[115:116]
	v_add3_u32 v112, v112, v120, v119
	v_add_f64 v[6:7], v[50:51], v[54:55]
	v_fma_f64 v[50:51], v[101:102], s[6:7], -v[56:57]
	v_mul_f64 v[54:55], v[66:67], s[14:15]
	v_mul_f64 v[56:57], v[97:98], s[30:31]
	v_fma_f64 v[115:116], v[99:100], s[0:1], v[8:9]
	v_fma_f64 v[117:118], v[88:89], s[22:23], v[10:11]
	v_add_f64 v[46:47], v[26:27], v[46:47]
	v_add_f64 v[4:5], v[4:5], v[48:49]
	v_fma_f64 v[48:49], v[42:43], s[2:3], -v[52:53]
	v_mul_f64 v[52:53], v[64:65], s[12:13]
	v_mul_f64 v[119:120], v[103:104], s[18:19]
	v_fma_f64 v[121:122], v[105:106], s[2:3], v[56:57]
	v_add_f64 v[115:116], v[24:25], v[115:116]
	v_fma_f64 v[123:124], v[74:75], s[34:35], v[54:55]
	v_add_f64 v[46:47], v[117:118], v[46:47]
	v_add_f64 v[4:5], v[50:51], v[4:5]
	v_mul_f64 v[50:51], v[107:108], s[26:27]
	v_mul_f64 v[117:118], v[62:63], s[6:7]
	v_fma_f64 v[125:126], v[109:110], s[14:15], v[119:120]
	v_fma_f64 v[113:114], v[90:91], s[24:25], v[113:114]
	v_add_f64 v[115:116], v[121:122], v[115:116]
	v_fma_f64 v[121:122], v[44:45], s[28:29], v[52:53]
	v_add_f64 v[46:47], v[123:124], v[46:47]
	v_mul_f64 v[123:124], v[95:96], s[36:37]
	v_fma_f64 v[127:128], v[101:102], s[12:13], v[50:51]
	v_fma_f64 v[10:11], v[88:89], s[30:31], v[10:11]
	v_fma_f64 v[8:9], v[99:100], s[0:1], -v[8:9]
	v_add_f64 v[113:114], v[26:27], v[113:114]
	v_add_f64 v[115:116], v[125:126], v[115:116]
	v_fma_f64 v[125:126], v[36:37], s[8:9], v[117:118]
	v_add_f64 v[46:47], v[121:122], v[46:47]
	v_fma_f64 v[121:122], v[42:43], s[6:7], v[123:124]
	v_fma_f64 v[54:55], v[74:75], s[18:19], v[54:55]
	v_fma_f64 v[56:57], v[105:106], s[2:3], -v[56:57]
	v_add_f64 v[8:9], v[24:25], v[8:9]
	v_add_f64 v[113:114], v[10:11], v[113:114]
	;; [unrolled: 1-line block ×5, first 2 shown]
	v_fma_f64 v[46:47], v[44:45], s[26:27], v[52:53]
	v_mul_f64 v[52:53], v[68:69], s[2:3]
	v_fma_f64 v[48:49], v[109:110], s[14:15], -v[119:120]
	v_add_f64 v[56:57], v[56:57], v[8:9]
	v_add_f64 v[54:55], v[54:55], v[113:114]
	;; [unrolled: 1-line block ×3, first 2 shown]
	v_fma_f64 v[113:114], v[36:37], s[36:37], v[117:118]
	v_mul_f64 v[115:116], v[86:87], s[22:23]
	v_mul_f64 v[117:118], v[84:85], s[12:13]
	v_fma_f64 v[119:120], v[90:91], s[30:31], v[52:53]
	v_fma_f64 v[50:51], v[101:102], s[12:13], -v[50:51]
	v_add_f64 v[48:49], v[48:49], v[56:57]
	v_add_f64 v[46:47], v[46:47], v[54:55]
	v_fma_f64 v[54:55], v[42:43], s[6:7], -v[123:124]
	v_mul_f64 v[56:57], v[97:98], s[28:29]
	v_fma_f64 v[121:122], v[99:100], s[2:3], v[115:116]
	v_mul_f64 v[123:124], v[66:67], s[6:7]
	v_fma_f64 v[125:126], v[88:89], s[26:27], v[117:118]
	v_add_f64 v[119:120], v[26:27], v[119:120]
	v_add_f64 v[50:51], v[50:51], v[48:49]
	;; [unrolled: 1-line block ×3, first 2 shown]
	v_mul_f64 v[113:114], v[103:104], s[36:37]
	v_fma_f64 v[127:128], v[105:106], s[12:13], v[56:57]
	v_add_f64 v[121:122], v[24:25], v[121:122]
	v_mul_f64 v[129:130], v[64:65], s[14:15]
	v_fma_f64 v[131:132], v[74:75], s[8:9], v[123:124]
	v_add_f64 v[119:120], v[125:126], v[119:120]
	v_add_f64 v[46:47], v[54:55], v[50:51]
	v_mul_f64 v[54:55], v[62:63], s[0:1]
	v_mul_f64 v[125:126], v[107:108], s[18:19]
	v_fma_f64 v[50:51], v[109:110], s[6:7], v[113:114]
	v_add_f64 v[121:122], v[127:128], v[121:122]
	v_fma_f64 v[127:128], v[44:45], s[34:35], v[129:130]
	v_fma_f64 v[52:53], v[90:91], s[22:23], v[52:53]
	v_add_f64 v[119:120], v[131:132], v[119:120]
	v_fma_f64 v[115:116], v[99:100], s[2:3], -v[115:116]
	v_mul_f64 v[131:132], v[95:96], s[24:25]
	v_fma_f64 v[133:134], v[36:37], s[16:17], v[54:55]
	v_fma_f64 v[135:136], v[101:102], s[14:15], v[125:126]
	v_add_f64 v[50:51], v[50:51], v[121:122]
	v_fma_f64 v[117:118], v[88:89], s[28:29], v[117:118]
	v_add_f64 v[52:53], v[26:27], v[52:53]
	v_add_f64 v[119:120], v[127:128], v[119:120]
	v_mul_f64 v[127:128], v[68:69], s[6:7]
	v_fma_f64 v[56:57], v[105:106], s[12:13], -v[56:57]
	v_add_f64 v[115:116], v[24:25], v[115:116]
	v_fma_f64 v[121:122], v[42:43], s[0:1], v[131:132]
	v_add_f64 v[50:51], v[135:136], v[50:51]
	v_fma_f64 v[123:124], v[74:75], s[36:37], v[123:124]
	v_add_f64 v[117:118], v[117:118], v[52:53]
	v_add_f64 v[52:53], v[133:134], v[119:120]
	v_mul_f64 v[119:120], v[84:85], s[0:1]
	v_fma_f64 v[133:134], v[90:91], s[36:37], v[127:128]
	v_fma_f64 v[113:114], v[109:110], s[6:7], -v[113:114]
	v_add_f64 v[56:57], v[56:57], v[115:116]
	v_add_f64 v[50:51], v[121:122], v[50:51]
	v_fma_f64 v[115:116], v[44:45], s[18:19], v[129:130]
	v_add_f64 v[117:118], v[123:124], v[117:118]
	v_mul_f64 v[121:122], v[66:67], s[12:13]
	v_fma_f64 v[123:124], v[88:89], s[16:17], v[119:120]
	v_add_f64 v[129:130], v[26:27], v[133:134]
	v_fma_f64 v[125:126], v[101:102], s[14:15], -v[125:126]
	v_add_f64 v[56:57], v[113:114], v[56:57]
	v_mul_f64 v[113:114], v[86:87], s[8:9]
	v_fma_f64 v[54:55], v[36:37], s[24:25], v[54:55]
	v_add_f64 v[115:116], v[115:116], v[117:118]
	v_mul_f64 v[117:118], v[64:65], s[2:3]
	v_fma_f64 v[133:134], v[74:75], s[26:27], v[121:122]
	v_add_f64 v[123:124], v[123:124], v[129:130]
	v_fma_f64 v[129:130], v[42:43], s[0:1], -v[131:132]
	v_add_f64 v[125:126], v[125:126], v[56:57]
	v_mul_f64 v[131:132], v[97:98], s[24:25]
	v_fma_f64 v[135:136], v[99:100], s[6:7], v[113:114]
	v_add_f64 v[56:57], v[54:55], v[115:116]
	v_fma_f64 v[137:138], v[44:45], s[22:23], v[117:118]
	v_add_f64 v[58:59], v[26:27], v[58:59]
	v_add_f64 v[123:124], v[133:134], v[123:124]
	v_mul_f64 v[133:134], v[103:104], s[28:29]
	v_add_f64 v[54:55], v[129:130], v[125:126]
	v_fma_f64 v[125:126], v[105:106], s[0:1], v[131:132]
	v_add_f64 v[129:130], v[24:25], v[135:136]
	v_mul_f64 v[143:144], v[107:108], s[30:31]
	v_mul_f64 v[145:146], v[68:69], s[14:15]
	v_fma_f64 v[68:69], v[90:91], s[8:9], v[127:128]
	v_add_f64 v[123:124], v[137:138], v[123:124]
	v_fma_f64 v[137:138], v[109:110], s[12:13], v[133:134]
	v_fma_f64 v[113:114], v[99:100], s[6:7], -v[113:114]
	v_add_f64 v[60:61], v[24:25], v[60:61]
	v_add_f64 v[125:126], v[125:126], v[129:130]
	;; [unrolled: 1-line block ×3, first 2 shown]
	v_fma_f64 v[129:130], v[101:102], s[2:3], v[143:144]
	v_fma_f64 v[119:120], v[88:89], s[24:25], v[119:120]
	v_mul_f64 v[84:85], v[84:85], s[6:7]
	v_fma_f64 v[147:148], v[90:91], s[34:35], v[145:146]
	v_add_f64 v[68:69], v[26:27], v[68:69]
	v_fma_f64 v[131:132], v[105:106], s[0:1], -v[131:132]
	v_add_f64 v[125:126], v[137:138], v[125:126]
	v_add_f64 v[113:114], v[24:25], v[113:114]
	;; [unrolled: 1-line block ×4, first 2 shown]
	v_fma_f64 v[121:122], v[74:75], s[28:29], v[121:122]
	v_mul_f64 v[66:67], v[66:67], s[2:3]
	v_fma_f64 v[137:138], v[88:89], s[36:37], v[84:85]
	v_add_f64 v[147:148], v[26:27], v[147:148]
	v_add_f64 v[68:69], v[119:120], v[68:69]
	;; [unrolled: 1-line block ×3, first 2 shown]
	v_fma_f64 v[125:126], v[109:110], s[12:13], -v[133:134]
	v_add_f64 v[113:114], v[131:132], v[113:114]
	v_add_f64 v[80:81], v[80:81], v[82:83]
	v_add_f64 v[70:71], v[72:73], v[70:71]
	v_mul_f64 v[135:136], v[95:96], s[34:35]
	v_mul_f64 v[129:130], v[64:65], s[0:1]
	v_fma_f64 v[64:65], v[74:75], s[30:31], v[66:67]
	v_add_f64 v[131:132], v[137:138], v[147:148]
	v_add_f64 v[68:69], v[121:122], v[68:69]
	v_fma_f64 v[121:122], v[101:102], s[2:3], -v[143:144]
	v_add_f64 v[113:114], v[125:126], v[113:114]
	v_mul_f64 v[86:87], v[86:87], s[18:19]
	v_add_f64 v[78:79], v[78:79], v[80:81]
	v_add_f64 v[40:41], v[40:41], v[70:71]
	v_mul_f64 v[115:116], v[62:63], s[14:15]
	v_mul_f64 v[125:126], v[62:63], s[12:13]
	v_fma_f64 v[62:63], v[44:45], s[16:17], v[129:130]
	v_add_f64 v[64:65], v[64:65], v[131:132]
	v_fma_f64 v[76:77], v[42:43], s[14:15], -v[135:136]
	v_add_f64 v[113:114], v[121:122], v[113:114]
	v_mul_f64 v[72:73], v[97:98], s[8:9]
	v_fma_f64 v[82:83], v[99:100], s[14:15], v[86:87]
	v_fma_f64 v[90:91], v[90:91], s[18:19], v[145:146]
	v_fma_f64 v[86:87], v[99:100], s[14:15], -v[86:87]
	v_add_f64 v[38:39], v[38:39], v[78:79]
	v_add_f64 v[34:35], v[34:35], v[40:41]
	;; [unrolled: 1-line block ×4, first 2 shown]
	v_mul_f64 v[76:77], v[95:96], s[26:27]
	v_mul_f64 v[94:95], v[103:104], s[22:23]
	v_fma_f64 v[70:71], v[105:106], s[6:7], v[72:73]
	v_add_f64 v[82:83], v[24:25], v[82:83]
	v_fma_f64 v[78:79], v[88:89], s[8:9], v[84:85]
	v_add_f64 v[26:27], v[26:27], v[90:91]
	v_fma_f64 v[72:73], v[105:106], s[6:7], -v[72:73]
	v_add_f64 v[24:25], v[24:25], v[86:87]
	v_add_f64 v[32:33], v[32:33], v[38:39]
	;; [unrolled: 1-line block ×3, first 2 shown]
	v_mul_f64 v[80:81], v[107:108], s[24:25]
	v_fma_f64 v[38:39], v[74:75], s[22:23], v[66:67]
	v_fma_f64 v[66:67], v[109:110], s[2:3], -v[94:95]
	v_add_f64 v[26:27], v[78:79], v[26:27]
	v_fma_f64 v[117:118], v[44:45], s[30:31], v[117:118]
	v_add_f64 v[24:25], v[72:73], v[24:25]
	v_add_f64 v[28:29], v[28:29], v[32:33]
	;; [unrolled: 1-line block ×3, first 2 shown]
	v_fma_f64 v[32:33], v[44:45], s[24:25], v[129:130]
	v_fma_f64 v[139:140], v[36:37], s[18:19], v[115:116]
	v_fma_f64 v[115:116], v[36:37], s[34:35], v[115:116]
	v_add_f64 v[26:27], v[38:39], v[26:27]
	v_fma_f64 v[38:39], v[101:102], s[0:1], -v[80:81]
	v_add_f64 v[24:25], v[66:67], v[24:25]
	v_add_f64 v[20:21], v[20:21], v[28:29]
	;; [unrolled: 1-line block ×3, first 2 shown]
	v_fma_f64 v[28:29], v[36:37], s[26:27], v[125:126]
	v_add_f64 v[68:69], v[117:118], v[68:69]
	v_fma_f64 v[117:118], v[36:37], s[28:29], v[125:126]
	v_add_f64 v[26:27], v[32:33], v[26:27]
	v_fma_f64 v[32:33], v[42:43], s[12:13], -v[76:77]
	v_add_f64 v[24:25], v[38:39], v[24:25]
	v_add_f64 v[20:21], v[16:17], v[20:21]
	v_fma_f64 v[34:35], v[101:102], s[0:1], v[80:81]
	v_mad_u64_u32 v[36:37], s[0:1], s20, v142, 0
	v_add_f64 v[22:23], v[12:13], v[22:23]
	v_lshlrev_b64 v[12:13], 4, v[111:112]
	v_mov_b32_e32 v16, v37
	v_add_f64 v[18:19], v[28:29], v[26:27]
	v_mad_u64_u32 v[26:27], s[0:1], s21, v142, v[16:17]
	v_add_f64 v[16:17], v[32:33], v[24:25]
	v_add_f64 v[20:21], v[14:15], v[20:21]
	v_mov_b32_e32 v14, s11
	v_add_co_u32_e32 v15, vcc, s10, v12
	v_addc_co_u32_e32 v14, vcc, v14, v13, vcc
	v_lshlrev_b64 v[12:13], 4, v[92:93]
	v_add_u32_e32 v24, 34, v142
	v_add_co_u32_e32 v27, vcc, v15, v12
	v_addc_co_u32_e32 v28, vcc, v14, v13, vcc
	v_mad_u64_u32 v[14:15], s[0:1], s20, v24, 0
	v_mov_b32_e32 v37, v26
	v_add_u32_e32 v29, 0x44, v142
	v_mad_u64_u32 v[24:25], s[0:1], s21, v24, v[15:16]
	v_lshlrev_b64 v[12:13], 4, v[36:37]
	v_mad_u64_u32 v[25:26], s[0:1], s20, v29, 0
	v_add_co_u32_e32 v12, vcc, v27, v12
	v_addc_co_u32_e32 v13, vcc, v28, v13, vcc
	v_mov_b32_e32 v15, v24
	global_store_dwordx4 v[12:13], v[20:23], off
	v_lshlrev_b64 v[12:13], 4, v[14:15]
	v_mov_b32_e32 v14, v26
	v_mad_u64_u32 v[14:15], s[0:1], s21, v29, v[14:15]
	v_add_co_u32_e32 v12, vcc, v27, v12
	v_addc_co_u32_e32 v13, vcc, v28, v13, vcc
	global_store_dwordx4 v[12:13], v[16:19], off
	v_mov_b32_e32 v26, v14
	v_add_u32_e32 v16, 0x66, v142
	v_mad_u64_u32 v[14:15], s[0:1], s20, v16, 0
	v_add_f64 v[64:65], v[115:116], v[68:69]
	v_add_u32_e32 v18, 0x88, v142
	v_mad_u64_u32 v[15:16], s[0:1], s21, v16, v[15:16]
	v_lshlrev_b64 v[12:13], 4, v[25:26]
	v_mad_u64_u32 v[16:17], s[0:1], s20, v18, 0
	v_add_co_u32_e32 v12, vcc, v27, v12
	v_addc_co_u32_e32 v13, vcc, v28, v13, vcc
	global_store_dwordx4 v[12:13], v[62:65], off
	v_lshlrev_b64 v[12:13], 4, v[14:15]
	v_mov_b32_e32 v14, v17
	v_mad_u64_u32 v[14:15], s[0:1], s21, v18, v[14:15]
	v_add_co_u32_e32 v12, vcc, v27, v12
	v_addc_co_u32_e32 v13, vcc, v28, v13, vcc
	v_mov_b32_e32 v17, v14
	global_store_dwordx4 v[12:13], v[54:57], off
	v_lshlrev_b64 v[12:13], 4, v[16:17]
	v_add_u32_e32 v16, 0xaa, v142
	v_mad_u64_u32 v[14:15], s[0:1], s20, v16, 0
	v_add_co_u32_e32 v12, vcc, v27, v12
	v_mad_u64_u32 v[15:16], s[0:1], s21, v16, v[15:16]
	v_addc_co_u32_e32 v13, vcc, v28, v13, vcc
	v_add_u32_e32 v18, 0xcc, v142
	v_mad_u64_u32 v[16:17], s[0:1], s20, v18, 0
	global_store_dwordx4 v[12:13], v[46:49], off
	v_lshlrev_b64 v[12:13], 4, v[14:15]
	v_mov_b32_e32 v14, v17
	v_add_co_u32_e32 v12, vcc, v27, v12
	v_addc_co_u32_e32 v13, vcc, v28, v13, vcc
	global_store_dwordx4 v[12:13], v[4:7], off
	v_add_u32_e32 v12, 0xee, v142
	v_mad_u64_u32 v[14:15], s[0:1], s21, v18, v[14:15]
	v_mad_u64_u32 v[6:7], s[0:1], s20, v12, 0
	v_fma_f64 v[40:41], v[109:110], s[2:3], v[94:95]
	v_add_f64 v[70:71], v[70:71], v[82:83]
	v_mov_b32_e32 v17, v14
	v_mad_u64_u32 v[12:13], s[0:1], s21, v12, v[7:8]
	v_add_u32_e32 v15, 0x110, v142
	v_lshlrev_b64 v[4:5], 4, v[16:17]
	v_mad_u64_u32 v[13:14], s[0:1], s20, v15, 0
	v_add_co_u32_e32 v4, vcc, v27, v4
	v_addc_co_u32_e32 v5, vcc, v28, v5, vcc
	v_add_f64 v[40:41], v[40:41], v[70:71]
	global_store_dwordx4 v[4:5], v[0:3], off
	v_fma_f64 v[127:128], v[42:43], s[14:15], v[135:136]
	v_mov_b32_e32 v2, v14
	v_mad_u64_u32 v[2:3], s[0:1], s21, v15, v[2:3]
	v_add_u32_e32 v4, 0x132, v142
	v_mov_b32_e32 v7, v12
	v_mov_b32_e32 v14, v2
	v_mad_u64_u32 v[2:3], s[0:1], s20, v4, 0
	v_lshlrev_b64 v[0:1], 4, v[6:7]
	v_fma_f64 v[30:31], v[42:43], s[12:13], v[76:77]
	v_add_f64 v[34:35], v[34:35], v[40:41]
	v_add_co_u32_e32 v0, vcc, v27, v0
	v_addc_co_u32_e32 v1, vcc, v28, v1, vcc
	v_mad_u64_u32 v[3:4], s[0:1], s21, v4, v[3:4]
	v_add_u32_e32 v6, 0x154, v142
	global_store_dwordx4 v[0:1], v[8:11], off
	v_lshlrev_b64 v[0:1], 4, v[13:14]
	v_mad_u64_u32 v[4:5], s[0:1], s20, v6, 0
	v_add_f64 v[60:61], v[139:140], v[123:124]
	v_add_f64 v[58:59], v[127:128], v[119:120]
	v_add_co_u32_e32 v0, vcc, v27, v0
	v_addc_co_u32_e32 v1, vcc, v28, v1, vcc
	global_store_dwordx4 v[0:1], v[50:53], off
	v_lshlrev_b64 v[0:1], 4, v[2:3]
	v_mov_b32_e32 v2, v5
	v_mad_u64_u32 v[2:3], s[0:1], s21, v6, v[2:3]
	v_add_f64 v[68:69], v[117:118], v[121:122]
	v_add_f64 v[66:67], v[30:31], v[34:35]
	v_add_co_u32_e32 v0, vcc, v27, v0
	v_addc_co_u32_e32 v1, vcc, v28, v1, vcc
	v_mov_b32_e32 v5, v2
	global_store_dwordx4 v[0:1], v[58:61], off
	v_lshlrev_b64 v[0:1], 4, v[4:5]
	v_add_co_u32_e32 v0, vcc, v27, v0
	v_addc_co_u32_e32 v1, vcc, v28, v1, vcc
	global_store_dwordx4 v[0:1], v[66:69], off
.LBB0_26:
	s_endpgm
	.section	.rodata,"a",@progbits
	.p2align	6, 0x0
	.amdhsa_kernel fft_rtc_fwd_len374_factors_17_2_11_wgs_238_tpt_34_halfLds_dp_op_CI_CI_sbrr_dirReg
		.amdhsa_group_segment_fixed_size 0
		.amdhsa_private_segment_fixed_size 0
		.amdhsa_kernarg_size 104
		.amdhsa_user_sgpr_count 6
		.amdhsa_user_sgpr_private_segment_buffer 1
		.amdhsa_user_sgpr_dispatch_ptr 0
		.amdhsa_user_sgpr_queue_ptr 0
		.amdhsa_user_sgpr_kernarg_segment_ptr 1
		.amdhsa_user_sgpr_dispatch_id 0
		.amdhsa_user_sgpr_flat_scratch_init 0
		.amdhsa_user_sgpr_private_segment_size 0
		.amdhsa_uses_dynamic_stack 0
		.amdhsa_system_sgpr_private_segment_wavefront_offset 0
		.amdhsa_system_sgpr_workgroup_id_x 1
		.amdhsa_system_sgpr_workgroup_id_y 0
		.amdhsa_system_sgpr_workgroup_id_z 0
		.amdhsa_system_sgpr_workgroup_info 0
		.amdhsa_system_vgpr_workitem_id 0
		.amdhsa_next_free_vgpr 197
		.amdhsa_next_free_sgpr 60
		.amdhsa_reserve_vcc 1
		.amdhsa_reserve_flat_scratch 0
		.amdhsa_float_round_mode_32 0
		.amdhsa_float_round_mode_16_64 0
		.amdhsa_float_denorm_mode_32 3
		.amdhsa_float_denorm_mode_16_64 3
		.amdhsa_dx10_clamp 1
		.amdhsa_ieee_mode 1
		.amdhsa_fp16_overflow 0
		.amdhsa_exception_fp_ieee_invalid_op 0
		.amdhsa_exception_fp_denorm_src 0
		.amdhsa_exception_fp_ieee_div_zero 0
		.amdhsa_exception_fp_ieee_overflow 0
		.amdhsa_exception_fp_ieee_underflow 0
		.amdhsa_exception_fp_ieee_inexact 0
		.amdhsa_exception_int_div_zero 0
	.end_amdhsa_kernel
	.text
.Lfunc_end0:
	.size	fft_rtc_fwd_len374_factors_17_2_11_wgs_238_tpt_34_halfLds_dp_op_CI_CI_sbrr_dirReg, .Lfunc_end0-fft_rtc_fwd_len374_factors_17_2_11_wgs_238_tpt_34_halfLds_dp_op_CI_CI_sbrr_dirReg
                                        ; -- End function
	.section	.AMDGPU.csdata,"",@progbits
; Kernel info:
; codeLenInByte = 14208
; NumSgprs: 64
; NumVgprs: 197
; ScratchSize: 0
; MemoryBound: 1
; FloatMode: 240
; IeeeMode: 1
; LDSByteSize: 0 bytes/workgroup (compile time only)
; SGPRBlocks: 7
; VGPRBlocks: 49
; NumSGPRsForWavesPerEU: 64
; NumVGPRsForWavesPerEU: 197
; Occupancy: 1
; WaveLimiterHint : 1
; COMPUTE_PGM_RSRC2:SCRATCH_EN: 0
; COMPUTE_PGM_RSRC2:USER_SGPR: 6
; COMPUTE_PGM_RSRC2:TRAP_HANDLER: 0
; COMPUTE_PGM_RSRC2:TGID_X_EN: 1
; COMPUTE_PGM_RSRC2:TGID_Y_EN: 0
; COMPUTE_PGM_RSRC2:TGID_Z_EN: 0
; COMPUTE_PGM_RSRC2:TIDIG_COMP_CNT: 0
	.type	__hip_cuid_64856a585070322d,@object ; @__hip_cuid_64856a585070322d
	.section	.bss,"aw",@nobits
	.globl	__hip_cuid_64856a585070322d
__hip_cuid_64856a585070322d:
	.byte	0                               ; 0x0
	.size	__hip_cuid_64856a585070322d, 1

	.ident	"AMD clang version 19.0.0git (https://github.com/RadeonOpenCompute/llvm-project roc-6.4.0 25133 c7fe45cf4b819c5991fe208aaa96edf142730f1d)"
	.section	".note.GNU-stack","",@progbits
	.addrsig
	.addrsig_sym __hip_cuid_64856a585070322d
	.amdgpu_metadata
---
amdhsa.kernels:
  - .args:
      - .actual_access:  read_only
        .address_space:  global
        .offset:         0
        .size:           8
        .value_kind:     global_buffer
      - .offset:         8
        .size:           8
        .value_kind:     by_value
      - .actual_access:  read_only
        .address_space:  global
        .offset:         16
        .size:           8
        .value_kind:     global_buffer
      - .actual_access:  read_only
        .address_space:  global
        .offset:         24
        .size:           8
        .value_kind:     global_buffer
      - .actual_access:  read_only
        .address_space:  global
        .offset:         32
        .size:           8
        .value_kind:     global_buffer
      - .offset:         40
        .size:           8
        .value_kind:     by_value
      - .actual_access:  read_only
        .address_space:  global
        .offset:         48
        .size:           8
        .value_kind:     global_buffer
      - .actual_access:  read_only
        .address_space:  global
        .offset:         56
        .size:           8
        .value_kind:     global_buffer
      - .offset:         64
        .size:           4
        .value_kind:     by_value
      - .actual_access:  read_only
        .address_space:  global
        .offset:         72
        .size:           8
        .value_kind:     global_buffer
      - .actual_access:  read_only
        .address_space:  global
        .offset:         80
        .size:           8
        .value_kind:     global_buffer
      - .actual_access:  read_only
        .address_space:  global
        .offset:         88
        .size:           8
        .value_kind:     global_buffer
      - .actual_access:  write_only
        .address_space:  global
        .offset:         96
        .size:           8
        .value_kind:     global_buffer
    .group_segment_fixed_size: 0
    .kernarg_segment_align: 8
    .kernarg_segment_size: 104
    .language:       OpenCL C
    .language_version:
      - 2
      - 0
    .max_flat_workgroup_size: 238
    .name:           fft_rtc_fwd_len374_factors_17_2_11_wgs_238_tpt_34_halfLds_dp_op_CI_CI_sbrr_dirReg
    .private_segment_fixed_size: 0
    .sgpr_count:     64
    .sgpr_spill_count: 0
    .symbol:         fft_rtc_fwd_len374_factors_17_2_11_wgs_238_tpt_34_halfLds_dp_op_CI_CI_sbrr_dirReg.kd
    .uniform_work_group_size: 1
    .uses_dynamic_stack: false
    .vgpr_count:     197
    .vgpr_spill_count: 0
    .wavefront_size: 64
amdhsa.target:   amdgcn-amd-amdhsa--gfx906
amdhsa.version:
  - 1
  - 2
...

	.end_amdgpu_metadata
